;; amdgpu-corpus repo=ROCm/rocFFT kind=compiled arch=gfx1201 opt=O3
	.text
	.amdgcn_target "amdgcn-amd-amdhsa--gfx1201"
	.amdhsa_code_object_version 6
	.protected	fft_rtc_fwd_len1352_factors_2_13_13_4_wgs_52_tpt_52_halfLds_dp_ip_CI_unitstride_sbrr_C2R_dirReg ; -- Begin function fft_rtc_fwd_len1352_factors_2_13_13_4_wgs_52_tpt_52_halfLds_dp_ip_CI_unitstride_sbrr_C2R_dirReg
	.globl	fft_rtc_fwd_len1352_factors_2_13_13_4_wgs_52_tpt_52_halfLds_dp_ip_CI_unitstride_sbrr_C2R_dirReg
	.p2align	8
	.type	fft_rtc_fwd_len1352_factors_2_13_13_4_wgs_52_tpt_52_halfLds_dp_ip_CI_unitstride_sbrr_C2R_dirReg,@function
fft_rtc_fwd_len1352_factors_2_13_13_4_wgs_52_tpt_52_halfLds_dp_ip_CI_unitstride_sbrr_C2R_dirReg: ; @fft_rtc_fwd_len1352_factors_2_13_13_4_wgs_52_tpt_52_halfLds_dp_ip_CI_unitstride_sbrr_C2R_dirReg
; %bb.0:
	s_clause 0x2
	s_load_b128 s[4:7], s[0:1], 0x0
	s_load_b64 s[8:9], s[0:1], 0x50
	s_load_b64 s[10:11], s[0:1], 0x18
	v_mul_u32_u24_e32 v1, 0x4ed, v0
	v_mov_b32_e32 v3, 0
	s_delay_alu instid0(VALU_DEP_2) | instskip(NEXT) | instid1(VALU_DEP_1)
	v_lshrrev_b32_e32 v1, 16, v1
	v_add_nc_u32_e32 v5, ttmp9, v1
	v_mov_b32_e32 v1, 0
	v_mov_b32_e32 v2, 0
	;; [unrolled: 1-line block ×3, first 2 shown]
	s_wait_kmcnt 0x0
	v_cmp_lt_u64_e64 s2, s[6:7], 2
	s_delay_alu instid0(VALU_DEP_1)
	s_and_b32 vcc_lo, exec_lo, s2
	s_cbranch_vccnz .LBB0_8
; %bb.1:
	s_load_b64 s[2:3], s[0:1], 0x10
	v_mov_b32_e32 v1, 0
	v_mov_b32_e32 v2, 0
	s_add_nc_u64 s[12:13], s[10:11], 8
	s_mov_b64 s[14:15], 1
	s_wait_kmcnt 0x0
	s_add_nc_u64 s[16:17], s[2:3], 8
	s_mov_b32 s3, 0
.LBB0_2:                                ; =>This Inner Loop Header: Depth=1
	s_load_b64 s[18:19], s[16:17], 0x0
                                        ; implicit-def: $vgpr7_vgpr8
	s_mov_b32 s2, exec_lo
	s_wait_kmcnt 0x0
	v_or_b32_e32 v4, s19, v6
	s_delay_alu instid0(VALU_DEP_1)
	v_cmpx_ne_u64_e32 0, v[3:4]
	s_wait_alu 0xfffe
	s_xor_b32 s20, exec_lo, s2
	s_cbranch_execz .LBB0_4
; %bb.3:                                ;   in Loop: Header=BB0_2 Depth=1
	s_cvt_f32_u32 s2, s18
	s_cvt_f32_u32 s21, s19
	s_sub_nc_u64 s[24:25], 0, s[18:19]
	s_wait_alu 0xfffe
	s_delay_alu instid0(SALU_CYCLE_1) | instskip(SKIP_1) | instid1(SALU_CYCLE_2)
	s_fmamk_f32 s2, s21, 0x4f800000, s2
	s_wait_alu 0xfffe
	v_s_rcp_f32 s2, s2
	s_delay_alu instid0(TRANS32_DEP_1) | instskip(SKIP_1) | instid1(SALU_CYCLE_2)
	s_mul_f32 s2, s2, 0x5f7ffffc
	s_wait_alu 0xfffe
	s_mul_f32 s21, s2, 0x2f800000
	s_wait_alu 0xfffe
	s_delay_alu instid0(SALU_CYCLE_2) | instskip(SKIP_1) | instid1(SALU_CYCLE_2)
	s_trunc_f32 s21, s21
	s_wait_alu 0xfffe
	s_fmamk_f32 s2, s21, 0xcf800000, s2
	s_cvt_u32_f32 s23, s21
	s_wait_alu 0xfffe
	s_delay_alu instid0(SALU_CYCLE_1) | instskip(SKIP_1) | instid1(SALU_CYCLE_2)
	s_cvt_u32_f32 s22, s2
	s_wait_alu 0xfffe
	s_mul_u64 s[26:27], s[24:25], s[22:23]
	s_wait_alu 0xfffe
	s_mul_hi_u32 s29, s22, s27
	s_mul_i32 s28, s22, s27
	s_mul_hi_u32 s2, s22, s26
	s_mul_i32 s30, s23, s26
	s_wait_alu 0xfffe
	s_add_nc_u64 s[28:29], s[2:3], s[28:29]
	s_mul_hi_u32 s21, s23, s26
	s_mul_hi_u32 s31, s23, s27
	s_add_co_u32 s2, s28, s30
	s_wait_alu 0xfffe
	s_add_co_ci_u32 s2, s29, s21
	s_mul_i32 s26, s23, s27
	s_add_co_ci_u32 s27, s31, 0
	s_wait_alu 0xfffe
	s_add_nc_u64 s[26:27], s[2:3], s[26:27]
	s_wait_alu 0xfffe
	v_add_co_u32 v4, s2, s22, s26
	s_delay_alu instid0(VALU_DEP_1) | instskip(SKIP_1) | instid1(VALU_DEP_1)
	s_cmp_lg_u32 s2, 0
	s_add_co_ci_u32 s23, s23, s27
	v_readfirstlane_b32 s22, v4
	s_wait_alu 0xfffe
	s_delay_alu instid0(VALU_DEP_1)
	s_mul_u64 s[24:25], s[24:25], s[22:23]
	s_wait_alu 0xfffe
	s_mul_hi_u32 s27, s22, s25
	s_mul_i32 s26, s22, s25
	s_mul_hi_u32 s2, s22, s24
	s_mul_i32 s28, s23, s24
	s_wait_alu 0xfffe
	s_add_nc_u64 s[26:27], s[2:3], s[26:27]
	s_mul_hi_u32 s21, s23, s24
	s_mul_hi_u32 s22, s23, s25
	s_wait_alu 0xfffe
	s_add_co_u32 s2, s26, s28
	s_add_co_ci_u32 s2, s27, s21
	s_mul_i32 s24, s23, s25
	s_add_co_ci_u32 s25, s22, 0
	s_wait_alu 0xfffe
	s_add_nc_u64 s[24:25], s[2:3], s[24:25]
	s_wait_alu 0xfffe
	v_add_co_u32 v4, s2, v4, s24
	s_delay_alu instid0(VALU_DEP_1) | instskip(SKIP_1) | instid1(VALU_DEP_1)
	s_cmp_lg_u32 s2, 0
	s_add_co_ci_u32 s2, s23, s25
	v_mul_hi_u32 v13, v5, v4
	s_wait_alu 0xfffe
	v_mad_co_u64_u32 v[7:8], null, v5, s2, 0
	v_mad_co_u64_u32 v[9:10], null, v6, v4, 0
	;; [unrolled: 1-line block ×3, first 2 shown]
	s_delay_alu instid0(VALU_DEP_3) | instskip(SKIP_1) | instid1(VALU_DEP_4)
	v_add_co_u32 v4, vcc_lo, v13, v7
	s_wait_alu 0xfffd
	v_add_co_ci_u32_e32 v7, vcc_lo, 0, v8, vcc_lo
	s_delay_alu instid0(VALU_DEP_2) | instskip(SKIP_1) | instid1(VALU_DEP_2)
	v_add_co_u32 v4, vcc_lo, v4, v9
	s_wait_alu 0xfffd
	v_add_co_ci_u32_e32 v4, vcc_lo, v7, v10, vcc_lo
	s_wait_alu 0xfffd
	v_add_co_ci_u32_e32 v7, vcc_lo, 0, v12, vcc_lo
	s_delay_alu instid0(VALU_DEP_2) | instskip(SKIP_1) | instid1(VALU_DEP_2)
	v_add_co_u32 v4, vcc_lo, v4, v11
	s_wait_alu 0xfffd
	v_add_co_ci_u32_e32 v9, vcc_lo, 0, v7, vcc_lo
	s_delay_alu instid0(VALU_DEP_2) | instskip(SKIP_1) | instid1(VALU_DEP_3)
	v_mul_lo_u32 v10, s19, v4
	v_mad_co_u64_u32 v[7:8], null, s18, v4, 0
	v_mul_lo_u32 v11, s18, v9
	s_delay_alu instid0(VALU_DEP_2) | instskip(NEXT) | instid1(VALU_DEP_2)
	v_sub_co_u32 v7, vcc_lo, v5, v7
	v_add3_u32 v8, v8, v11, v10
	s_delay_alu instid0(VALU_DEP_1) | instskip(SKIP_1) | instid1(VALU_DEP_1)
	v_sub_nc_u32_e32 v10, v6, v8
	s_wait_alu 0xfffd
	v_subrev_co_ci_u32_e64 v10, s2, s19, v10, vcc_lo
	v_add_co_u32 v11, s2, v4, 2
	s_wait_alu 0xf1ff
	v_add_co_ci_u32_e64 v12, s2, 0, v9, s2
	v_sub_co_u32 v13, s2, v7, s18
	v_sub_co_ci_u32_e32 v8, vcc_lo, v6, v8, vcc_lo
	s_wait_alu 0xf1ff
	v_subrev_co_ci_u32_e64 v10, s2, 0, v10, s2
	s_delay_alu instid0(VALU_DEP_3) | instskip(NEXT) | instid1(VALU_DEP_3)
	v_cmp_le_u32_e32 vcc_lo, s18, v13
	v_cmp_eq_u32_e64 s2, s19, v8
	s_wait_alu 0xfffd
	v_cndmask_b32_e64 v13, 0, -1, vcc_lo
	v_cmp_le_u32_e32 vcc_lo, s19, v10
	s_wait_alu 0xfffd
	v_cndmask_b32_e64 v14, 0, -1, vcc_lo
	v_cmp_le_u32_e32 vcc_lo, s18, v7
	;; [unrolled: 3-line block ×3, first 2 shown]
	s_wait_alu 0xfffd
	v_cndmask_b32_e64 v15, 0, -1, vcc_lo
	v_cmp_eq_u32_e32 vcc_lo, s19, v10
	s_wait_alu 0xf1ff
	s_delay_alu instid0(VALU_DEP_2)
	v_cndmask_b32_e64 v7, v15, v7, s2
	s_wait_alu 0xfffd
	v_cndmask_b32_e32 v10, v14, v13, vcc_lo
	v_add_co_u32 v13, vcc_lo, v4, 1
	s_wait_alu 0xfffd
	v_add_co_ci_u32_e32 v14, vcc_lo, 0, v9, vcc_lo
	s_delay_alu instid0(VALU_DEP_3) | instskip(SKIP_2) | instid1(VALU_DEP_3)
	v_cmp_ne_u32_e32 vcc_lo, 0, v10
	s_wait_alu 0xfffd
	v_cndmask_b32_e32 v10, v13, v11, vcc_lo
	v_cndmask_b32_e32 v8, v14, v12, vcc_lo
	v_cmp_ne_u32_e32 vcc_lo, 0, v7
	s_wait_alu 0xfffd
	s_delay_alu instid0(VALU_DEP_2)
	v_dual_cndmask_b32 v7, v4, v10 :: v_dual_cndmask_b32 v8, v9, v8
.LBB0_4:                                ;   in Loop: Header=BB0_2 Depth=1
	s_wait_alu 0xfffe
	s_and_not1_saveexec_b32 s2, s20
	s_cbranch_execz .LBB0_6
; %bb.5:                                ;   in Loop: Header=BB0_2 Depth=1
	v_cvt_f32_u32_e32 v4, s18
	s_sub_co_i32 s20, 0, s18
	s_delay_alu instid0(VALU_DEP_1) | instskip(NEXT) | instid1(TRANS32_DEP_1)
	v_rcp_iflag_f32_e32 v4, v4
	v_mul_f32_e32 v4, 0x4f7ffffe, v4
	s_delay_alu instid0(VALU_DEP_1) | instskip(SKIP_1) | instid1(VALU_DEP_1)
	v_cvt_u32_f32_e32 v4, v4
	s_wait_alu 0xfffe
	v_mul_lo_u32 v7, s20, v4
	s_delay_alu instid0(VALU_DEP_1) | instskip(NEXT) | instid1(VALU_DEP_1)
	v_mul_hi_u32 v7, v4, v7
	v_add_nc_u32_e32 v4, v4, v7
	s_delay_alu instid0(VALU_DEP_1) | instskip(NEXT) | instid1(VALU_DEP_1)
	v_mul_hi_u32 v4, v5, v4
	v_mul_lo_u32 v7, v4, s18
	v_add_nc_u32_e32 v8, 1, v4
	s_delay_alu instid0(VALU_DEP_2) | instskip(NEXT) | instid1(VALU_DEP_1)
	v_sub_nc_u32_e32 v7, v5, v7
	v_subrev_nc_u32_e32 v9, s18, v7
	v_cmp_le_u32_e32 vcc_lo, s18, v7
	s_wait_alu 0xfffd
	s_delay_alu instid0(VALU_DEP_2) | instskip(NEXT) | instid1(VALU_DEP_1)
	v_dual_cndmask_b32 v7, v7, v9 :: v_dual_cndmask_b32 v4, v4, v8
	v_cmp_le_u32_e32 vcc_lo, s18, v7
	s_delay_alu instid0(VALU_DEP_2) | instskip(SKIP_1) | instid1(VALU_DEP_1)
	v_add_nc_u32_e32 v8, 1, v4
	s_wait_alu 0xfffd
	v_dual_cndmask_b32 v7, v4, v8 :: v_dual_mov_b32 v8, v3
.LBB0_6:                                ;   in Loop: Header=BB0_2 Depth=1
	s_wait_alu 0xfffe
	s_or_b32 exec_lo, exec_lo, s2
	s_load_b64 s[20:21], s[12:13], 0x0
	s_delay_alu instid0(VALU_DEP_1)
	v_mul_lo_u32 v4, v8, s18
	v_mul_lo_u32 v11, v7, s19
	v_mad_co_u64_u32 v[9:10], null, v7, s18, 0
	s_add_nc_u64 s[14:15], s[14:15], 1
	s_add_nc_u64 s[12:13], s[12:13], 8
	s_wait_alu 0xfffe
	v_cmp_ge_u64_e64 s2, s[14:15], s[6:7]
	s_add_nc_u64 s[16:17], s[16:17], 8
	s_delay_alu instid0(VALU_DEP_2) | instskip(NEXT) | instid1(VALU_DEP_3)
	v_add3_u32 v4, v10, v11, v4
	v_sub_co_u32 v5, vcc_lo, v5, v9
	s_wait_alu 0xfffd
	s_delay_alu instid0(VALU_DEP_2) | instskip(SKIP_3) | instid1(VALU_DEP_2)
	v_sub_co_ci_u32_e32 v4, vcc_lo, v6, v4, vcc_lo
	s_and_b32 vcc_lo, exec_lo, s2
	s_wait_kmcnt 0x0
	v_mul_lo_u32 v6, s21, v5
	v_mul_lo_u32 v4, s20, v4
	v_mad_co_u64_u32 v[1:2], null, s20, v5, v[1:2]
	s_delay_alu instid0(VALU_DEP_1)
	v_add3_u32 v2, v6, v2, v4
	s_wait_alu 0xfffe
	s_cbranch_vccnz .LBB0_9
; %bb.7:                                ;   in Loop: Header=BB0_2 Depth=1
	v_dual_mov_b32 v5, v7 :: v_dual_mov_b32 v6, v8
	s_branch .LBB0_2
.LBB0_8:
	v_dual_mov_b32 v8, v6 :: v_dual_mov_b32 v7, v5
.LBB0_9:
	s_lshl_b64 s[2:3], s[6:7], 3
	v_mul_hi_u32 v5, 0x4ec4ec5, v0
	s_wait_alu 0xfffe
	s_add_nc_u64 s[2:3], s[10:11], s[2:3]
	s_load_b64 s[2:3], s[2:3], 0x0
	s_load_b64 s[0:1], s[0:1], 0x20
	s_wait_kmcnt 0x0
	v_mul_lo_u32 v3, s2, v8
	v_mul_lo_u32 v4, s3, v7
	v_mad_co_u64_u32 v[1:2], null, s2, v7, v[1:2]
	v_cmp_gt_u64_e32 vcc_lo, s[0:1], v[7:8]
	s_delay_alu instid0(VALU_DEP_2) | instskip(SKIP_1) | instid1(VALU_DEP_2)
	v_add3_u32 v2, v4, v2, v3
	v_mul_u32_u24_e32 v3, 52, v5
	v_lshlrev_b64_e32 v[114:115], 4, v[1:2]
	s_delay_alu instid0(VALU_DEP_2)
	v_sub_nc_u32_e32 v112, v0, v3
	s_and_saveexec_b32 s1, vcc_lo
	s_cbranch_execz .LBB0_13
; %bb.10:
	v_mov_b32_e32 v113, 0
	s_delay_alu instid0(VALU_DEP_3) | instskip(SKIP_2) | instid1(VALU_DEP_3)
	v_add_co_u32 v0, s0, s8, v114
	s_wait_alu 0xf1ff
	v_add_co_ci_u32_e64 v1, s0, s9, v115, s0
	v_lshlrev_b64_e32 v[2:3], 4, v[112:113]
	v_lshl_add_u32 v106, v112, 4, 0
	s_delay_alu instid0(VALU_DEP_2) | instskip(SKIP_1) | instid1(VALU_DEP_3)
	v_add_co_u32 v102, s0, v0, v2
	s_wait_alu 0xf1ff
	v_add_co_ci_u32_e64 v103, s0, v1, v3, s0
	v_cmp_eq_u32_e64 s0, 51, v112
	s_clause 0x19
	global_load_b128 v[2:5], v[102:103], off
	global_load_b128 v[6:9], v[102:103], off offset:832
	global_load_b128 v[10:13], v[102:103], off offset:1664
	;; [unrolled: 1-line block ×25, first 2 shown]
	s_wait_loadcnt 0x19
	ds_store_b128 v106, v[2:5]
	s_wait_loadcnt 0x18
	ds_store_b128 v106, v[6:9] offset:832
	s_wait_loadcnt 0x17
	ds_store_b128 v106, v[10:13] offset:1664
	;; [unrolled: 2-line block ×25, first 2 shown]
	s_and_saveexec_b32 s2, s0
	s_cbranch_execz .LBB0_12
; %bb.11:
	global_load_b128 v[0:3], v[0:1], off offset:21632
	v_mov_b32_e32 v112, 51
	s_wait_loadcnt 0x0
	ds_store_b128 v113, v[0:3] offset:21632
.LBB0_12:
	s_wait_alu 0xfffe
	s_or_b32 exec_lo, exec_lo, s2
.LBB0_13:
	s_wait_alu 0xfffe
	s_or_b32 exec_lo, exec_lo, s1
	v_lshlrev_b32_e32 v0, 4, v112
	global_wb scope:SCOPE_SE
	s_wait_dscnt 0x0
	s_barrier_signal -1
	s_barrier_wait -1
	global_inv scope:SCOPE_SE
	v_add_nc_u32_e32 v156, 0, v0
	v_sub_nc_u32_e32 v10, 0, v0
	s_mov_b32 s1, exec_lo
                                        ; implicit-def: $vgpr4_vgpr5
	ds_load_b64 v[6:7], v156
	ds_load_b64 v[8:9], v10 offset:21632
	s_wait_dscnt 0x0
	v_add_f64_e32 v[0:1], v[6:7], v[8:9]
	v_add_f64_e64 v[2:3], v[6:7], -v[8:9]
	v_cmpx_ne_u32_e32 0, v112
	s_wait_alu 0xfffe
	s_xor_b32 s1, exec_lo, s1
	s_cbranch_execz .LBB0_15
; %bb.14:
	v_mov_b32_e32 v113, 0
	v_add_f64_e32 v[13:14], v[6:7], v[8:9]
	v_add_f64_e64 v[15:16], v[6:7], -v[8:9]
	s_delay_alu instid0(VALU_DEP_3) | instskip(NEXT) | instid1(VALU_DEP_1)
	v_lshlrev_b64_e32 v[0:1], 4, v[112:113]
	v_add_co_u32 v0, s0, s4, v0
	s_wait_alu 0xf1ff
	s_delay_alu instid0(VALU_DEP_2)
	v_add_co_ci_u32_e64 v1, s0, s5, v1, s0
	global_load_b128 v[2:5], v[0:1], off offset:21600
	ds_load_b64 v[0:1], v10 offset:21640
	ds_load_b64 v[11:12], v156 offset:8
	s_wait_dscnt 0x0
	v_add_f64_e32 v[6:7], v[0:1], v[11:12]
	v_add_f64_e64 v[0:1], v[11:12], -v[0:1]
	s_wait_loadcnt 0x0
	v_fma_f64 v[8:9], v[15:16], v[4:5], v[13:14]
	v_fma_f64 v[11:12], -v[15:16], v[4:5], v[13:14]
	s_delay_alu instid0(VALU_DEP_3) | instskip(SKIP_1) | instid1(VALU_DEP_4)
	v_fma_f64 v[13:14], v[6:7], v[4:5], -v[0:1]
	v_fma_f64 v[4:5], v[6:7], v[4:5], v[0:1]
	v_fma_f64 v[0:1], -v[6:7], v[2:3], v[8:9]
	s_delay_alu instid0(VALU_DEP_4) | instskip(NEXT) | instid1(VALU_DEP_4)
	v_fma_f64 v[6:7], v[6:7], v[2:3], v[11:12]
	v_fma_f64 v[8:9], v[15:16], v[2:3], v[13:14]
	s_delay_alu instid0(VALU_DEP_4)
	v_fma_f64 v[2:3], v[15:16], v[2:3], v[4:5]
	v_dual_mov_b32 v4, v112 :: v_dual_mov_b32 v5, v113
	ds_store_b128 v10, v[6:9] offset:21632
.LBB0_15:
	s_wait_alu 0xfffe
	s_and_not1_saveexec_b32 s0, s1
	s_cbranch_execz .LBB0_17
; %bb.16:
	v_mov_b32_e32 v8, 0
	ds_load_b128 v[4:7], v8 offset:10816
	s_wait_dscnt 0x0
	v_add_f64_e32 v[11:12], v[4:5], v[4:5]
	v_mul_f64_e32 v[13:14], -2.0, v[6:7]
	v_mov_b32_e32 v4, 0
	v_mov_b32_e32 v5, 0
	ds_store_b128 v8, v[11:14] offset:10816
.LBB0_17:
	s_wait_alu 0xfffe
	s_or_b32 exec_lo, exec_lo, s0
	ds_store_b128 v156, v[0:3]
	ds_load_b128 v[6:9], v156 offset:832
	ds_load_b128 v[11:14], v10 offset:20800
	v_lshlrev_b64_e32 v[0:1], 4, v[4:5]
	s_add_nc_u64 s[0:1], s[4:5], 0x5460
	v_add_nc_u32_e32 v157, 52, v112
	v_add_nc_u32_e32 v113, 0x138, v112
	v_and_b32_e32 v158, 1, v112
	s_mov_b32 s28, 0x4267c47c
	s_wait_alu 0xfffe
	v_add_co_u32 v0, s0, s0, v0
	s_wait_alu 0xf1ff
	v_add_co_ci_u32_e64 v1, s0, s1, v1, s0
	v_lshl_add_u32 v104, v157, 5, 0
	s_mov_b32 s20, 0x42a4c3d2
	s_mov_b32 s24, 0x66966769
	;; [unrolled: 1-line block ×8, first 2 shown]
	s_wait_dscnt 0x0
	v_add_f64_e32 v[15:16], v[6:7], v[11:12]
	v_add_f64_e32 v[17:18], v[13:14], v[8:9]
	v_add_f64_e64 v[19:20], v[6:7], -v[11:12]
	v_add_f64_e64 v[21:22], v[8:9], -v[13:14]
	s_clause 0x1
	global_load_b128 v[2:5], v[0:1], off offset:832
	global_load_b128 v[6:9], v[0:1], off offset:1664
	s_mov_b32 s19, 0xbfedeba7
	s_mov_b32 s23, 0xbfe5384d
	;; [unrolled: 1-line block ×16, first 2 shown]
	s_wait_alu 0xfffe
	s_mov_b32 s36, s22
	s_mov_b32 s31, 0x3fefc445
	;; [unrolled: 1-line block ×11, first 2 shown]
	v_cmp_gt_u32_e64 s0, 26, v112
	s_wait_loadcnt 0x1
	v_fma_f64 v[11:12], v[19:20], v[4:5], v[15:16]
	v_fma_f64 v[13:14], v[17:18], v[4:5], v[21:22]
	v_fma_f64 v[15:16], -v[19:20], v[4:5], v[15:16]
	v_fma_f64 v[4:5], v[17:18], v[4:5], -v[21:22]
	s_delay_alu instid0(VALU_DEP_4) | instskip(NEXT) | instid1(VALU_DEP_4)
	v_fma_f64 v[11:12], -v[17:18], v[2:3], v[11:12]
	v_fma_f64 v[13:14], v[19:20], v[2:3], v[13:14]
	s_delay_alu instid0(VALU_DEP_4) | instskip(NEXT) | instid1(VALU_DEP_4)
	v_fma_f64 v[15:16], v[17:18], v[2:3], v[15:16]
	v_fma_f64 v[17:18], v[19:20], v[2:3], v[4:5]
	ds_store_b128 v156, v[11:14] offset:832
	ds_store_b128 v10, v[15:18] offset:20800
	ds_load_b128 v[2:5], v156 offset:1664
	ds_load_b128 v[11:14], v10 offset:19968
	s_wait_dscnt 0x0
	v_add_f64_e32 v[15:16], v[2:3], v[11:12]
	v_add_f64_e32 v[17:18], v[13:14], v[4:5]
	v_add_f64_e64 v[19:20], v[2:3], -v[11:12]
	v_add_f64_e64 v[11:12], v[4:5], -v[13:14]
	s_wait_loadcnt 0x0
	s_delay_alu instid0(VALU_DEP_2) | instskip(NEXT) | instid1(VALU_DEP_2)
	v_fma_f64 v[2:3], v[19:20], v[8:9], v[15:16]
	v_fma_f64 v[4:5], v[17:18], v[8:9], v[11:12]
	v_fma_f64 v[13:14], -v[19:20], v[8:9], v[15:16]
	v_fma_f64 v[8:9], v[17:18], v[8:9], -v[11:12]
	s_delay_alu instid0(VALU_DEP_4) | instskip(NEXT) | instid1(VALU_DEP_4)
	v_fma_f64 v[2:3], -v[17:18], v[6:7], v[2:3]
	v_fma_f64 v[4:5], v[19:20], v[6:7], v[4:5]
	s_delay_alu instid0(VALU_DEP_4) | instskip(NEXT) | instid1(VALU_DEP_4)
	v_fma_f64 v[11:12], v[17:18], v[6:7], v[13:14]
	v_fma_f64 v[13:14], v[19:20], v[6:7], v[8:9]
	ds_store_b128 v156, v[2:5] offset:1664
	ds_store_b128 v10, v[11:14] offset:19968
	ds_load_b128 v[2:5], v156 offset:2496
	ds_load_b128 v[6:9], v10 offset:19136
	s_wait_dscnt 0x0
	v_add_f64_e32 v[15:16], v[2:3], v[6:7]
	v_add_f64_e32 v[17:18], v[8:9], v[4:5]
	v_add_f64_e64 v[19:20], v[2:3], -v[6:7]
	v_add_f64_e64 v[21:22], v[4:5], -v[8:9]
	s_clause 0x1
	global_load_b128 v[2:5], v[0:1], off offset:2496
	global_load_b128 v[6:9], v[0:1], off offset:3328
	s_wait_loadcnt 0x1
	v_fma_f64 v[11:12], v[19:20], v[4:5], v[15:16]
	v_fma_f64 v[13:14], v[17:18], v[4:5], v[21:22]
	v_fma_f64 v[15:16], -v[19:20], v[4:5], v[15:16]
	v_fma_f64 v[4:5], v[17:18], v[4:5], -v[21:22]
	s_delay_alu instid0(VALU_DEP_4) | instskip(NEXT) | instid1(VALU_DEP_4)
	v_fma_f64 v[11:12], -v[17:18], v[2:3], v[11:12]
	v_fma_f64 v[13:14], v[19:20], v[2:3], v[13:14]
	s_delay_alu instid0(VALU_DEP_4) | instskip(NEXT) | instid1(VALU_DEP_4)
	v_fma_f64 v[15:16], v[17:18], v[2:3], v[15:16]
	v_fma_f64 v[17:18], v[19:20], v[2:3], v[4:5]
	ds_store_b128 v156, v[11:14] offset:2496
	ds_store_b128 v10, v[15:18] offset:19136
	ds_load_b128 v[2:5], v156 offset:3328
	ds_load_b128 v[11:14], v10 offset:18304
	s_wait_dscnt 0x0
	v_add_f64_e32 v[15:16], v[2:3], v[11:12]
	v_add_f64_e32 v[17:18], v[13:14], v[4:5]
	v_add_f64_e64 v[19:20], v[2:3], -v[11:12]
	v_add_f64_e64 v[11:12], v[4:5], -v[13:14]
	s_wait_loadcnt 0x0
	s_delay_alu instid0(VALU_DEP_2) | instskip(NEXT) | instid1(VALU_DEP_2)
	v_fma_f64 v[2:3], v[19:20], v[8:9], v[15:16]
	v_fma_f64 v[4:5], v[17:18], v[8:9], v[11:12]
	v_fma_f64 v[13:14], -v[19:20], v[8:9], v[15:16]
	v_fma_f64 v[8:9], v[17:18], v[8:9], -v[11:12]
	s_delay_alu instid0(VALU_DEP_4) | instskip(NEXT) | instid1(VALU_DEP_4)
	v_fma_f64 v[2:3], -v[17:18], v[6:7], v[2:3]
	v_fma_f64 v[4:5], v[19:20], v[6:7], v[4:5]
	s_delay_alu instid0(VALU_DEP_4) | instskip(NEXT) | instid1(VALU_DEP_4)
	v_fma_f64 v[11:12], v[17:18], v[6:7], v[13:14]
	v_fma_f64 v[13:14], v[19:20], v[6:7], v[8:9]
	ds_store_b128 v156, v[2:5] offset:3328
	ds_store_b128 v10, v[11:14] offset:18304
	ds_load_b128 v[2:5], v156 offset:4160
	ds_load_b128 v[6:9], v10 offset:17472
	s_wait_dscnt 0x0
	v_add_f64_e32 v[15:16], v[2:3], v[6:7]
	v_add_f64_e32 v[17:18], v[8:9], v[4:5]
	v_add_f64_e64 v[19:20], v[2:3], -v[6:7]
	v_add_f64_e64 v[21:22], v[4:5], -v[8:9]
	s_clause 0x1
	global_load_b128 v[2:5], v[0:1], off offset:4160
	global_load_b128 v[6:9], v[0:1], off offset:4992
	;; [unrolled: 44-line block ×5, first 2 shown]
	s_wait_loadcnt 0x1
	v_fma_f64 v[0:1], v[19:20], v[4:5], v[15:16]
	v_fma_f64 v[13:14], v[17:18], v[4:5], v[21:22]
	s_delay_alu instid0(VALU_DEP_2) | instskip(SKIP_2) | instid1(VALU_DEP_4)
	v_fma_f64 v[11:12], -v[17:18], v[2:3], v[0:1]
	v_fma_f64 v[0:1], -v[19:20], v[4:5], v[15:16]
	v_fma_f64 v[4:5], v[17:18], v[4:5], -v[21:22]
	v_fma_f64 v[13:14], v[19:20], v[2:3], v[13:14]
	s_delay_alu instid0(VALU_DEP_3) | instskip(NEXT) | instid1(VALU_DEP_3)
	v_fma_f64 v[0:1], v[17:18], v[2:3], v[0:1]
	v_fma_f64 v[2:3], v[19:20], v[2:3], v[4:5]
	ds_store_b128 v156, v[11:14] offset:9152
	ds_store_b128 v10, v[0:3] offset:12480
	ds_load_b128 v[0:3], v156 offset:9984
	ds_load_b128 v[11:14], v10 offset:11648
	s_wait_dscnt 0x0
	v_add_f64_e32 v[4:5], v[0:1], v[11:12]
	v_add_f64_e32 v[15:16], v[13:14], v[2:3]
	v_add_f64_e64 v[11:12], v[0:1], -v[11:12]
	v_add_f64_e64 v[13:14], v[2:3], -v[13:14]
	s_wait_loadcnt 0x0
	s_delay_alu instid0(VALU_DEP_2) | instskip(NEXT) | instid1(VALU_DEP_2)
	v_fma_f64 v[0:1], v[11:12], v[8:9], v[4:5]
	v_fma_f64 v[2:3], v[15:16], v[8:9], v[13:14]
	v_fma_f64 v[4:5], -v[11:12], v[8:9], v[4:5]
	v_fma_f64 v[8:9], v[15:16], v[8:9], -v[13:14]
	s_delay_alu instid0(VALU_DEP_4) | instskip(NEXT) | instid1(VALU_DEP_4)
	v_fma_f64 v[0:1], -v[15:16], v[6:7], v[0:1]
	v_fma_f64 v[2:3], v[11:12], v[6:7], v[2:3]
	s_delay_alu instid0(VALU_DEP_4) | instskip(NEXT) | instid1(VALU_DEP_4)
	v_fma_f64 v[4:5], v[15:16], v[6:7], v[4:5]
	v_fma_f64 v[6:7], v[11:12], v[6:7], v[8:9]
	ds_store_b128 v156, v[0:3] offset:9984
	ds_store_b128 v10, v[4:7] offset:11648
	global_wb scope:SCOPE_SE
	s_wait_dscnt 0x0
	s_barrier_signal -1
	s_barrier_wait -1
	global_inv scope:SCOPE_SE
	global_wb scope:SCOPE_SE
	s_barrier_signal -1
	s_barrier_wait -1
	global_inv scope:SCOPE_SE
	ds_load_b128 v[4:7], v156 offset:832
	ds_load_b128 v[8:11], v156 offset:11648
	;; [unrolled: 1-line block ×3, first 2 shown]
	ds_load_b128 v[0:3], v156
	s_wait_dscnt 0x2
	v_add_f64_e64 v[88:89], v[4:5], -v[8:9]
	v_add_f64_e64 v[90:91], v[6:7], -v[10:11]
	s_delay_alu instid0(VALU_DEP_2) | instskip(NEXT) | instid1(VALU_DEP_2)
	v_fma_f64 v[92:93], v[4:5], 2.0, -v[88:89]
	v_fma_f64 v[94:95], v[6:7], 2.0, -v[90:91]
	ds_load_b128 v[12:15], v156 offset:1664
	ds_load_b128 v[4:7], v156 offset:2496
	;; [unrolled: 1-line block ×22, first 2 shown]
	global_wb scope:SCOPE_SE
	s_wait_dscnt 0x0
	s_barrier_signal -1
	s_barrier_wait -1
	global_inv scope:SCOPE_SE
	ds_store_b128 v104, v[88:91] offset:16
	ds_store_b128 v104, v[92:95]
	v_add_f64_e64 v[88:89], v[100:101], -v[96:97]
	v_add_f64_e64 v[90:91], v[102:103], -v[98:99]
	;; [unrolled: 1-line block ×24, first 2 shown]
	v_lshl_add_u32 v96, v113, 5, 0
	v_fma_f64 v[92:93], v[100:101], 2.0, -v[88:89]
	v_fma_f64 v[94:95], v[102:103], 2.0, -v[90:91]
	;; [unrolled: 1-line block ×24, first 2 shown]
	ds_store_b128 v96, v[88:91] offset:16
	ds_store_b128 v96, v[92:95]
	v_lshl_add_u32 v88, v112, 5, 0
	ds_store_b128 v88, v[84:87] offset:16
	ds_store_b128 v88, v[0:3]
	ds_store_b128 v88, v[44:47] offset:3344
	ds_store_b128 v88, v[12:15] offset:3328
	;; [unrolled: 1-line block ×17, first 2 shown]
	v_mul_u32_u24_e32 v0, 12, v158
	ds_store_b128 v88, v[28:31] offset:18304
	ds_store_b128 v88, v[76:79] offset:19984
	;; [unrolled: 1-line block ×3, first 2 shown]
	v_lshlrev_b32_e32 v22, 4, v0
	global_wb scope:SCOPE_SE
	s_wait_dscnt 0x0
	s_barrier_signal -1
	s_barrier_wait -1
	global_inv scope:SCOPE_SE
	s_clause 0x1
	global_load_b128 v[0:3], v22, s[4:5]
	global_load_b128 v[4:7], v22, s[4:5] offset:16
	ds_load_b128 v[10:13], v156 offset:1664
	ds_load_b128 v[14:17], v156 offset:2496
	s_wait_loadcnt_dscnt 0x101
	v_mul_f64_e32 v[8:9], v[12:13], v[2:3]
	s_delay_alu instid0(VALU_DEP_1) | instskip(SKIP_1) | instid1(VALU_DEP_1)
	v_fma_f64 v[8:9], v[10:11], v[0:1], -v[8:9]
	v_mul_f64_e32 v[10:11], v[10:11], v[2:3]
	v_fma_f64 v[10:11], v[12:13], v[0:1], v[10:11]
	s_wait_dscnt 0x0
	v_mul_f64_e32 v[12:13], v[16:17], v[2:3]
	v_mul_f64_e32 v[2:3], v[14:15], v[2:3]
	s_delay_alu instid0(VALU_DEP_2) | instskip(NEXT) | instid1(VALU_DEP_2)
	v_fma_f64 v[68:69], v[14:15], v[0:1], -v[12:13]
	v_fma_f64 v[70:71], v[16:17], v[0:1], v[2:3]
	ds_load_b128 v[0:3], v156 offset:3328
	ds_load_b128 v[12:15], v156 offset:4160
	s_wait_loadcnt_dscnt 0x1
	v_mul_f64_e32 v[16:17], v[2:3], v[6:7]
	s_delay_alu instid0(VALU_DEP_1) | instskip(SKIP_1) | instid1(VALU_DEP_1)
	v_fma_f64 v[72:73], v[0:1], v[4:5], -v[16:17]
	v_mul_f64_e32 v[0:1], v[0:1], v[6:7]
	v_fma_f64 v[74:75], v[2:3], v[4:5], v[0:1]
	s_wait_dscnt 0x0
	v_mul_f64_e32 v[0:1], v[14:15], v[6:7]
	s_delay_alu instid0(VALU_DEP_1) | instskip(SKIP_1) | instid1(VALU_DEP_1)
	v_fma_f64 v[24:25], v[12:13], v[4:5], -v[0:1]
	v_mul_f64_e32 v[0:1], v[12:13], v[6:7]
	v_fma_f64 v[26:27], v[14:15], v[4:5], v[0:1]
	s_clause 0x1
	global_load_b128 v[0:3], v22, s[4:5] offset:32
	global_load_b128 v[4:7], v22, s[4:5] offset:48
	ds_load_b128 v[12:15], v156 offset:4992
	ds_load_b128 v[16:19], v156 offset:5824
	s_wait_loadcnt_dscnt 0x101
	v_mul_f64_e32 v[20:21], v[14:15], v[2:3]
	s_delay_alu instid0(VALU_DEP_1) | instskip(SKIP_1) | instid1(VALU_DEP_1)
	v_fma_f64 v[76:77], v[12:13], v[0:1], -v[20:21]
	v_mul_f64_e32 v[12:13], v[12:13], v[2:3]
	v_fma_f64 v[78:79], v[14:15], v[0:1], v[12:13]
	s_wait_dscnt 0x0
	v_mul_f64_e32 v[12:13], v[18:19], v[2:3]
	v_mul_f64_e32 v[2:3], v[16:17], v[2:3]
	s_delay_alu instid0(VALU_DEP_2) | instskip(NEXT) | instid1(VALU_DEP_2)
	v_fma_f64 v[28:29], v[16:17], v[0:1], -v[12:13]
	v_fma_f64 v[30:31], v[18:19], v[0:1], v[2:3]
	ds_load_b128 v[0:3], v156 offset:6656
	ds_load_b128 v[12:15], v156 offset:7488
	s_wait_loadcnt_dscnt 0x1
	v_mul_f64_e32 v[16:17], v[2:3], v[6:7]
	s_delay_alu instid0(VALU_DEP_1) | instskip(SKIP_1) | instid1(VALU_DEP_1)
	v_fma_f64 v[80:81], v[0:1], v[4:5], -v[16:17]
	v_mul_f64_e32 v[0:1], v[0:1], v[6:7]
	v_fma_f64 v[82:83], v[2:3], v[4:5], v[0:1]
	s_wait_dscnt 0x0
	v_mul_f64_e32 v[0:1], v[14:15], v[6:7]
	s_delay_alu instid0(VALU_DEP_1) | instskip(SKIP_1) | instid1(VALU_DEP_1)
	v_fma_f64 v[32:33], v[12:13], v[4:5], -v[0:1]
	v_mul_f64_e32 v[0:1], v[12:13], v[6:7]
	v_fma_f64 v[34:35], v[14:15], v[4:5], v[0:1]
	s_clause 0x1
	global_load_b128 v[0:3], v22, s[4:5] offset:64
	;; [unrolled: 31-line block ×3, first 2 shown]
	global_load_b128 v[4:7], v22, s[4:5] offset:112
	ds_load_b128 v[12:15], v156 offset:11648
	ds_load_b128 v[16:19], v156 offset:12480
	s_wait_loadcnt_dscnt 0x101
	v_mul_f64_e32 v[20:21], v[14:15], v[2:3]
	s_delay_alu instid0(VALU_DEP_1) | instskip(SKIP_1) | instid1(VALU_DEP_2)
	v_fma_f64 v[92:93], v[12:13], v[0:1], -v[20:21]
	v_mul_f64_e32 v[12:13], v[12:13], v[2:3]
	v_add_f64_e32 v[213:214], v[88:89], v[92:93]
	s_delay_alu instid0(VALU_DEP_2) | instskip(SKIP_4) | instid1(VALU_DEP_4)
	v_fma_f64 v[94:95], v[14:15], v[0:1], v[12:13]
	s_wait_dscnt 0x0
	v_mul_f64_e32 v[12:13], v[18:19], v[2:3]
	v_mul_f64_e32 v[2:3], v[16:17], v[2:3]
	v_add_f64_e64 v[215:216], v[88:89], -v[92:93]
	v_add_f64_e64 v[211:212], v[90:91], -v[94:95]
	s_delay_alu instid0(VALU_DEP_4) | instskip(NEXT) | instid1(VALU_DEP_4)
	v_fma_f64 v[44:45], v[16:17], v[0:1], -v[12:13]
	v_fma_f64 v[46:47], v[18:19], v[0:1], v[2:3]
	ds_load_b128 v[0:3], v156 offset:13312
	ds_load_b128 v[12:15], v156 offset:14144
	v_add_f64_e32 v[217:218], v[90:91], v[94:95]
	s_wait_loadcnt_dscnt 0x1
	v_mul_f64_e32 v[16:17], v[2:3], v[6:7]
	s_delay_alu instid0(VALU_DEP_1) | instskip(SKIP_1) | instid1(VALU_DEP_2)
	v_fma_f64 v[96:97], v[0:1], v[4:5], -v[16:17]
	v_mul_f64_e32 v[0:1], v[0:1], v[6:7]
	v_add_f64_e32 v[205:206], v[84:85], v[96:97]
	s_delay_alu instid0(VALU_DEP_2) | instskip(SKIP_3) | instid1(VALU_DEP_3)
	v_fma_f64 v[98:99], v[2:3], v[4:5], v[0:1]
	s_wait_dscnt 0x0
	v_mul_f64_e32 v[0:1], v[14:15], v[6:7]
	v_add_f64_e64 v[207:208], v[84:85], -v[96:97]
	v_add_f64_e64 v[203:204], v[86:87], -v[98:99]
	s_delay_alu instid0(VALU_DEP_3) | instskip(SKIP_2) | instid1(VALU_DEP_2)
	v_fma_f64 v[48:49], v[12:13], v[4:5], -v[0:1]
	v_mul_f64_e32 v[0:1], v[12:13], v[6:7]
	v_add_f64_e32 v[209:210], v[86:87], v[98:99]
	v_fma_f64 v[50:51], v[14:15], v[4:5], v[0:1]
	s_clause 0x1
	global_load_b128 v[0:3], v22, s[4:5] offset:128
	global_load_b128 v[4:7], v22, s[4:5] offset:144
	ds_load_b128 v[12:15], v156 offset:14976
	ds_load_b128 v[16:19], v156 offset:15808
	s_wait_loadcnt_dscnt 0x101
	v_mul_f64_e32 v[20:21], v[14:15], v[2:3]
	s_delay_alu instid0(VALU_DEP_1) | instskip(SKIP_1) | instid1(VALU_DEP_2)
	v_fma_f64 v[100:101], v[12:13], v[0:1], -v[20:21]
	v_mul_f64_e32 v[12:13], v[12:13], v[2:3]
	v_add_f64_e32 v[197:198], v[80:81], v[100:101]
	s_delay_alu instid0(VALU_DEP_2) | instskip(SKIP_4) | instid1(VALU_DEP_4)
	v_fma_f64 v[102:103], v[14:15], v[0:1], v[12:13]
	s_wait_dscnt 0x0
	v_mul_f64_e32 v[12:13], v[18:19], v[2:3]
	v_mul_f64_e32 v[2:3], v[16:17], v[2:3]
	v_add_f64_e64 v[199:200], v[80:81], -v[100:101]
	v_add_f64_e64 v[195:196], v[82:83], -v[102:103]
	s_delay_alu instid0(VALU_DEP_4) | instskip(NEXT) | instid1(VALU_DEP_4)
	v_fma_f64 v[52:53], v[16:17], v[0:1], -v[12:13]
	v_fma_f64 v[54:55], v[18:19], v[0:1], v[2:3]
	ds_load_b128 v[0:3], v156 offset:16640
	ds_load_b128 v[12:15], v156 offset:17472
	v_add_f64_e32 v[201:202], v[82:83], v[102:103]
	s_wait_loadcnt_dscnt 0x1
	v_mul_f64_e32 v[16:17], v[2:3], v[6:7]
	s_delay_alu instid0(VALU_DEP_1) | instskip(SKIP_1) | instid1(VALU_DEP_2)
	v_fma_f64 v[104:105], v[0:1], v[4:5], -v[16:17]
	v_mul_f64_e32 v[0:1], v[0:1], v[6:7]
	v_add_f64_e32 v[189:190], v[76:77], v[104:105]
	s_delay_alu instid0(VALU_DEP_2) | instskip(SKIP_3) | instid1(VALU_DEP_3)
	v_fma_f64 v[106:107], v[2:3], v[4:5], v[0:1]
	s_wait_dscnt 0x0
	v_mul_f64_e32 v[0:1], v[14:15], v[6:7]
	v_add_f64_e64 v[191:192], v[76:77], -v[104:105]
	v_add_f64_e64 v[187:188], v[78:79], -v[106:107]
	s_delay_alu instid0(VALU_DEP_3) | instskip(SKIP_2) | instid1(VALU_DEP_2)
	v_fma_f64 v[56:57], v[12:13], v[4:5], -v[0:1]
	v_mul_f64_e32 v[0:1], v[12:13], v[6:7]
	v_add_f64_e32 v[193:194], v[78:79], v[106:107]
	v_fma_f64 v[58:59], v[14:15], v[4:5], v[0:1]
	s_clause 0x1
	global_load_b128 v[0:3], v22, s[4:5] offset:160
	global_load_b128 v[4:7], v22, s[4:5] offset:176
	ds_load_b128 v[12:15], v156 offset:18304
	ds_load_b128 v[16:19], v156 offset:19136
	s_wait_loadcnt_dscnt 0x101
	v_mul_f64_e32 v[20:21], v[14:15], v[2:3]
	s_delay_alu instid0(VALU_DEP_1) | instskip(SKIP_1) | instid1(VALU_DEP_2)
	v_fma_f64 v[108:109], v[12:13], v[0:1], -v[20:21]
	v_mul_f64_e32 v[12:13], v[12:13], v[2:3]
	v_add_f64_e32 v[181:182], v[72:73], v[108:109]
	s_delay_alu instid0(VALU_DEP_2) | instskip(SKIP_4) | instid1(VALU_DEP_4)
	v_fma_f64 v[110:111], v[14:15], v[0:1], v[12:13]
	s_wait_dscnt 0x0
	v_mul_f64_e32 v[12:13], v[18:19], v[2:3]
	v_mul_f64_e32 v[2:3], v[16:17], v[2:3]
	v_add_f64_e64 v[183:184], v[72:73], -v[108:109]
	v_add_f64_e64 v[179:180], v[74:75], -v[110:111]
	s_delay_alu instid0(VALU_DEP_4) | instskip(NEXT) | instid1(VALU_DEP_4)
	v_fma_f64 v[60:61], v[16:17], v[0:1], -v[12:13]
	v_fma_f64 v[62:63], v[18:19], v[0:1], v[2:3]
	ds_load_b128 v[0:3], v156 offset:19968
	ds_load_b128 v[12:15], v156 offset:20800
	v_add_f64_e32 v[185:186], v[74:75], v[110:111]
	s_wait_loadcnt_dscnt 0x1
	v_mul_f64_e32 v[16:17], v[2:3], v[6:7]
	s_delay_alu instid0(VALU_DEP_1) | instskip(SKIP_1) | instid1(VALU_DEP_2)
	v_fma_f64 v[116:117], v[0:1], v[4:5], -v[16:17]
	v_mul_f64_e32 v[0:1], v[0:1], v[6:7]
	v_add_f64_e32 v[124:125], v[8:9], v[116:117]
	s_delay_alu instid0(VALU_DEP_2) | instskip(SKIP_2) | instid1(VALU_DEP_2)
	v_fma_f64 v[118:119], v[2:3], v[4:5], v[0:1]
	s_wait_dscnt 0x0
	v_mul_f64_e32 v[0:1], v[14:15], v[6:7]
	v_add_f64_e32 v[159:160], v[10:11], v[118:119]
	s_delay_alu instid0(VALU_DEP_2) | instskip(SKIP_1) | instid1(VALU_DEP_1)
	v_fma_f64 v[64:65], v[12:13], v[4:5], -v[0:1]
	v_mul_f64_e32 v[0:1], v[12:13], v[6:7]
	v_fma_f64 v[66:67], v[14:15], v[4:5], v[0:1]
	v_add_f64_e64 v[0:1], v[10:11], -v[118:119]
	s_delay_alu instid0(VALU_DEP_1)
	v_mul_f64_e32 v[2:3], s[28:29], v[0:1]
	v_mul_f64_e32 v[4:5], s[20:21], v[0:1]
	;; [unrolled: 1-line block ×6, first 2 shown]
	v_fma_f64 v[130:131], v[124:125], s[10:11], -v[2:3]
	v_fma_f64 v[128:129], v[124:125], s[10:11], v[2:3]
	v_fma_f64 v[126:127], v[124:125], s[2:3], -v[4:5]
	v_fma_f64 v[122:123], v[124:125], s[2:3], v[4:5]
	;; [unrolled: 2-line block ×6, first 2 shown]
	v_add_f64_e64 v[0:1], v[8:9], -v[116:117]
	s_delay_alu instid0(VALU_DEP_1)
	v_mul_f64_e32 v[2:3], s[28:29], v[0:1]
	v_mul_f64_e32 v[4:5], s[20:21], v[0:1]
	;; [unrolled: 1-line block ×6, first 2 shown]
	v_fma_f64 v[154:155], v[159:160], s[10:11], v[2:3]
	v_fma_f64 v[152:153], v[159:160], s[10:11], -v[2:3]
	v_fma_f64 v[150:151], v[159:160], s[2:3], v[4:5]
	v_fma_f64 v[148:149], v[159:160], s[2:3], -v[4:5]
	;; [unrolled: 2-line block ×6, first 2 shown]
	ds_load_b128 v[0:3], v156
	ds_load_b128 v[4:7], v156 offset:832
	global_wb scope:SCOPE_SE
	s_wait_dscnt 0x0
	s_barrier_signal -1
	s_barrier_wait -1
	global_inv scope:SCOPE_SE
	v_add_f64_e32 v[169:170], v[0:1], v[12:13]
	v_mul_f64_e32 v[12:13], s[20:21], v[179:180]
	v_add_f64_e32 v[159:160], v[0:1], v[8:9]
	v_add_f64_e32 v[161:162], v[2:3], v[10:11]
	;; [unrolled: 1-line block ×25, first 2 shown]
	v_mul_f64_e32 v[134:135], s[34:35], v[211:212]
	v_fma_f64 v[0:1], v[181:182], s[2:3], -v[12:13]
	v_fma_f64 v[12:13], v[181:182], s[2:3], v[12:13]
	v_add_f64_e32 v[72:73], v[159:160], v[72:73]
	v_add_f64_e32 v[74:75], v[161:162], v[74:75]
	;; [unrolled: 1-line block ×4, first 2 shown]
	v_mul_f64_e32 v[8:9], s[20:21], v[183:184]
	v_add_f64_e32 v[12:13], v[12:13], v[128:129]
	v_mul_f64_e32 v[128:129], s[36:37], v[199:200]
	v_add_f64_e32 v[72:73], v[72:73], v[76:77]
	v_add_f64_e32 v[74:75], v[74:75], v[78:79]
	v_lshrrev_b32_e32 v76, 1, v112
	s_delay_alu instid0(VALU_DEP_1) | instskip(NEXT) | instid1(VALU_DEP_1)
	v_mul_u32_u24_e32 v76, 26, v76
	v_or_b32_e32 v76, v76, v158
	s_delay_alu instid0(VALU_DEP_1) | instskip(SKIP_4) | instid1(VALU_DEP_4)
	v_lshl_add_u32 v76, v76, 4, 0
	v_fma_f64 v[2:3], v[185:186], s[2:3], v[8:9]
	v_fma_f64 v[8:9], v[185:186], s[2:3], -v[8:9]
	v_add_f64_e32 v[72:73], v[72:73], v[80:81]
	v_add_f64_e32 v[74:75], v[74:75], v[82:83]
	;; [unrolled: 1-line block ×3, first 2 shown]
	v_mul_f64_e32 v[10:11], s[24:25], v[187:188]
	v_add_f64_e32 v[8:9], v[8:9], v[130:131]
	v_mul_f64_e32 v[130:131], s[30:31], v[203:204]
	v_add_f64_e32 v[72:73], v[72:73], v[84:85]
	v_add_f64_e32 v[74:75], v[74:75], v[86:87]
	v_fma_f64 v[14:15], v[189:190], s[6:7], -v[10:11]
	v_fma_f64 v[10:11], v[189:190], s[6:7], v[10:11]
	s_delay_alu instid0(VALU_DEP_4) | instskip(NEXT) | instid1(VALU_DEP_4)
	v_add_f64_e32 v[72:73], v[72:73], v[88:89]
	v_add_f64_e32 v[74:75], v[74:75], v[90:91]
	;; [unrolled: 1-line block ×4, first 2 shown]
	v_mul_f64_e32 v[14:15], s[24:25], v[191:192]
	v_add_f64_e32 v[10:11], v[10:11], v[12:13]
	v_add_f64_e32 v[72:73], v[72:73], v[92:93]
	;; [unrolled: 1-line block ×3, first 2 shown]
	s_delay_alu instid0(VALU_DEP_4) | instskip(SKIP_1) | instid1(VALU_DEP_4)
	v_fma_f64 v[16:17], v[193:194], s[6:7], v[14:15]
	v_fma_f64 v[12:13], v[193:194], s[6:7], -v[14:15]
	v_add_f64_e32 v[72:73], v[72:73], v[96:97]
	s_delay_alu instid0(VALU_DEP_4) | instskip(NEXT) | instid1(VALU_DEP_4)
	v_add_f64_e32 v[74:75], v[74:75], v[98:99]
	v_add_f64_e32 v[2:3], v[16:17], v[2:3]
	v_mul_f64_e32 v[16:17], s[18:19], v[195:196]
	v_add_f64_e32 v[8:9], v[12:13], v[8:9]
	v_add_f64_e32 v[72:73], v[72:73], v[100:101]
	;; [unrolled: 1-line block ×4, first 2 shown]
	v_fma_f64 v[18:19], v[197:198], s[12:13], -v[16:17]
	v_fma_f64 v[12:13], v[197:198], s[12:13], v[16:17]
	v_mul_f64_e32 v[16:17], s[18:19], v[183:184]
	v_add_f64_e32 v[72:73], v[72:73], v[104:105]
	v_add_f64_e32 v[74:75], v[74:75], v[106:107]
	;; [unrolled: 1-line block ×3, first 2 shown]
	v_mul_f64_e32 v[18:19], s[18:19], v[199:200]
	v_add_f64_e32 v[10:11], v[12:13], v[10:11]
	v_add_f64_e32 v[72:73], v[72:73], v[108:109]
	;; [unrolled: 1-line block ×3, first 2 shown]
	s_delay_alu instid0(VALU_DEP_4)
	v_fma_f64 v[20:21], v[201:202], s[12:13], v[18:19]
	v_fma_f64 v[12:13], v[201:202], s[12:13], -v[18:19]
	v_fma_f64 v[18:19], v[185:186], s[12:13], v[16:17]
	v_fma_f64 v[16:17], v[185:186], s[12:13], -v[16:17]
	v_add_f64_e32 v[72:73], v[72:73], v[116:117]
	v_add_f64_e32 v[74:75], v[74:75], v[118:119]
	v_add_f64_e64 v[118:119], v[26:27], -v[62:63]
	v_add_f64_e32 v[2:3], v[20:21], v[2:3]
	v_mul_f64_e32 v[20:21], s[22:23], v[203:204]
	v_add_f64_e32 v[8:9], v[12:13], v[8:9]
	v_add_f64_e32 v[18:19], v[18:19], v[150:151]
	;; [unrolled: 1-line block ×3, first 2 shown]
	v_mul_f64_e32 v[148:149], s[20:21], v[207:208]
	v_mul_f64_e32 v[150:151], s[22:23], v[211:212]
	v_fma_f64 v[120:121], v[205:206], s[14:15], -v[20:21]
	v_fma_f64 v[12:13], v[205:206], s[14:15], v[20:21]
	v_mul_f64_e32 v[20:21], s[26:27], v[187:188]
	s_delay_alu instid0(VALU_DEP_3) | instskip(SKIP_1) | instid1(VALU_DEP_4)
	v_add_f64_e32 v[0:1], v[120:121], v[0:1]
	v_mul_f64_e32 v[120:121], s[22:23], v[207:208]
	v_add_f64_e32 v[10:11], v[12:13], v[10:11]
	s_delay_alu instid0(VALU_DEP_2) | instskip(SKIP_2) | instid1(VALU_DEP_3)
	v_fma_f64 v[122:123], v[209:210], s[14:15], v[120:121]
	v_fma_f64 v[12:13], v[209:210], s[14:15], -v[120:121]
	v_fma_f64 v[120:121], v[189:190], s[16:17], -v[20:21]
	v_add_f64_e32 v[2:3], v[122:123], v[2:3]
	v_mul_f64_e32 v[122:123], s[26:27], v[211:212]
	s_delay_alu instid0(VALU_DEP_4) | instskip(NEXT) | instid1(VALU_DEP_2)
	v_add_f64_e32 v[12:13], v[12:13], v[8:9]
	v_fma_f64 v[124:125], v[213:214], s[16:17], -v[122:123]
	v_fma_f64 v[8:9], v[213:214], s[16:17], v[122:123]
	s_delay_alu instid0(VALU_DEP_2) | instskip(SKIP_1) | instid1(VALU_DEP_3)
	v_add_f64_e32 v[0:1], v[124:125], v[0:1]
	v_mul_f64_e32 v[124:125], s[26:27], v[215:216]
	v_add_f64_e32 v[8:9], v[8:9], v[10:11]
	s_delay_alu instid0(VALU_DEP_2) | instskip(SKIP_2) | instid1(VALU_DEP_3)
	v_fma_f64 v[14:15], v[217:218], s[16:17], -v[124:125]
	v_fma_f64 v[132:133], v[217:218], s[16:17], v[124:125]
	v_mul_f64_e32 v[124:125], s[26:27], v[191:192]
	v_add_f64_e32 v[10:11], v[14:15], v[12:13]
	v_mul_f64_e32 v[12:13], s[18:19], v[179:180]
	s_delay_alu instid0(VALU_DEP_4) | instskip(SKIP_1) | instid1(VALU_DEP_3)
	v_add_f64_e32 v[2:3], v[132:133], v[2:3]
	v_mul_f64_e32 v[132:133], s[30:31], v[207:208]
	v_fma_f64 v[14:15], v[181:182], s[12:13], -v[12:13]
	v_fma_f64 v[12:13], v[181:182], s[12:13], v[12:13]
	s_delay_alu instid0(VALU_DEP_2) | instskip(SKIP_1) | instid1(VALU_DEP_3)
	v_add_f64_e32 v[14:15], v[14:15], v[126:127]
	v_mul_f64_e32 v[126:127], s[36:37], v[195:196]
	v_add_f64_e32 v[12:13], v[12:13], v[152:153]
	s_delay_alu instid0(VALU_DEP_3) | instskip(SKIP_1) | instid1(VALU_DEP_1)
	v_add_f64_e32 v[14:15], v[120:121], v[14:15]
	v_fma_f64 v[120:121], v[193:194], s[16:17], v[124:125]
	v_add_f64_e32 v[18:19], v[120:121], v[18:19]
	v_fma_f64 v[120:121], v[197:198], s[14:15], -v[126:127]
	s_delay_alu instid0(VALU_DEP_1) | instskip(SKIP_1) | instid1(VALU_DEP_1)
	v_add_f64_e32 v[14:15], v[120:121], v[14:15]
	v_fma_f64 v[120:121], v[201:202], s[14:15], v[128:129]
	v_add_f64_e32 v[18:19], v[120:121], v[18:19]
	v_fma_f64 v[120:121], v[205:206], s[6:7], -v[130:131]
	s_delay_alu instid0(VALU_DEP_1) | instskip(SKIP_1) | instid1(VALU_DEP_1)
	;; [unrolled: 5-line block ×3, first 2 shown]
	v_add_f64_e32 v[120:121], v[120:121], v[14:15]
	v_mul_f64_e32 v[14:15], s[34:35], v[215:216]
	v_fma_f64 v[122:123], v[217:218], s[10:11], v[14:15]
	v_fma_f64 v[14:15], v[217:218], s[10:11], -v[14:15]
	s_delay_alu instid0(VALU_DEP_2) | instskip(SKIP_2) | instid1(VALU_DEP_2)
	v_add_f64_e32 v[122:123], v[122:123], v[18:19]
	v_fma_f64 v[18:19], v[189:190], s[16:17], v[20:21]
	v_mul_f64_e32 v[20:21], s[26:27], v[183:184]
	v_add_f64_e32 v[12:13], v[18:19], v[12:13]
	v_fma_f64 v[18:19], v[193:194], s[16:17], -v[124:125]
	s_delay_alu instid0(VALU_DEP_3) | instskip(SKIP_1) | instid1(VALU_DEP_3)
	v_fma_f64 v[124:125], v[185:186], s[16:17], v[20:21]
	v_fma_f64 v[20:21], v[185:186], s[16:17], -v[20:21]
	v_add_f64_e32 v[16:17], v[18:19], v[16:17]
	v_fma_f64 v[18:19], v[197:198], s[14:15], v[126:127]
	s_delay_alu instid0(VALU_DEP_4)
	v_add_f64_e32 v[124:125], v[124:125], v[146:147]
	v_mul_f64_e32 v[146:147], s[20:21], v[203:204]
	v_add_f64_e32 v[20:21], v[20:21], v[144:145]
	v_mul_f64_e32 v[144:145], s[24:25], v[195:196]
	v_add_f64_e32 v[12:13], v[18:19], v[12:13]
	v_fma_f64 v[18:19], v[201:202], s[14:15], -v[128:129]
	v_mul_f64_e32 v[128:129], s[42:43], v[187:188]
	s_delay_alu instid0(VALU_DEP_2) | instskip(SKIP_1) | instid1(VALU_DEP_3)
	v_add_f64_e32 v[16:17], v[18:19], v[16:17]
	v_fma_f64 v[18:19], v[205:206], s[6:7], v[130:131]
	v_fma_f64 v[126:127], v[189:190], s[12:13], -v[128:129]
	v_mul_f64_e32 v[130:131], s[42:43], v[191:192]
	s_delay_alu instid0(VALU_DEP_3) | instskip(SKIP_2) | instid1(VALU_DEP_2)
	v_add_f64_e32 v[12:13], v[18:19], v[12:13]
	v_fma_f64 v[18:19], v[209:210], s[6:7], -v[132:133]
	v_mul_f64_e32 v[132:133], s[34:35], v[195:196]
	v_add_f64_e32 v[16:17], v[18:19], v[16:17]
	v_fma_f64 v[18:19], v[213:214], s[10:11], v[134:135]
	v_mul_f64_e32 v[134:135], s[34:35], v[199:200]
	s_delay_alu instid0(VALU_DEP_3) | instskip(SKIP_1) | instid1(VALU_DEP_4)
	v_add_f64_e32 v[14:15], v[14:15], v[16:17]
	v_mul_f64_e32 v[16:17], s[26:27], v[179:180]
	v_add_f64_e32 v[12:13], v[18:19], v[12:13]
	s_delay_alu instid0(VALU_DEP_2) | instskip(SKIP_1) | instid1(VALU_DEP_2)
	v_fma_f64 v[18:19], v[181:182], s[16:17], -v[16:17]
	v_fma_f64 v[16:17], v[181:182], s[16:17], v[16:17]
	v_add_f64_e32 v[18:19], v[18:19], v[154:155]
	s_delay_alu instid0(VALU_DEP_2) | instskip(SKIP_1) | instid1(VALU_DEP_3)
	v_add_f64_e32 v[16:17], v[16:17], v[22:23]
	v_fma_f64 v[22:23], v[189:190], s[12:13], v[128:129]
	v_add_f64_e32 v[18:19], v[126:127], v[18:19]
	v_fma_f64 v[126:127], v[193:194], s[12:13], v[130:131]
	s_delay_alu instid0(VALU_DEP_3) | instskip(SKIP_1) | instid1(VALU_DEP_3)
	v_add_f64_e32 v[16:17], v[22:23], v[16:17]
	v_fma_f64 v[22:23], v[193:194], s[12:13], -v[130:131]
	v_add_f64_e32 v[124:125], v[126:127], v[124:125]
	v_fma_f64 v[126:127], v[197:198], s[10:11], -v[132:133]
	s_delay_alu instid0(VALU_DEP_3) | instskip(SKIP_2) | instid1(VALU_DEP_4)
	v_add_f64_e32 v[20:21], v[22:23], v[20:21]
	v_fma_f64 v[22:23], v[197:198], s[10:11], v[132:133]
	v_mul_f64_e32 v[132:133], s[36:37], v[183:184]
	v_add_f64_e32 v[18:19], v[126:127], v[18:19]
	v_fma_f64 v[126:127], v[201:202], s[10:11], v[134:135]
	s_delay_alu instid0(VALU_DEP_4)
	v_add_f64_e32 v[16:17], v[22:23], v[16:17]
	v_fma_f64 v[22:23], v[201:202], s[10:11], -v[134:135]
	v_fma_f64 v[128:129], v[185:186], s[14:15], v[132:133]
	v_mul_f64_e32 v[134:135], s[34:35], v[187:188]
	v_fma_f64 v[132:133], v[185:186], s[14:15], -v[132:133]
	v_add_f64_e32 v[124:125], v[126:127], v[124:125]
	v_fma_f64 v[126:127], v[205:206], s[2:3], -v[146:147]
	v_add_f64_e32 v[20:21], v[22:23], v[20:21]
	v_fma_f64 v[22:23], v[205:206], s[2:3], v[146:147]
	v_add_f64_e32 v[128:129], v[128:129], v[142:143]
	v_fma_f64 v[130:131], v[189:190], s[10:11], -v[134:135]
	v_mul_f64_e32 v[142:143], s[34:35], v[191:192]
	v_fma_f64 v[134:135], v[189:190], s[10:11], v[134:135]
	v_mul_f64_e32 v[146:147], s[24:25], v[199:200]
	v_add_f64_e32 v[132:133], v[132:133], v[140:141]
	v_mul_f64_e32 v[140:141], s[30:31], v[179:180]
	v_add_f64_e32 v[18:19], v[126:127], v[18:19]
	v_fma_f64 v[126:127], v[209:210], s[2:3], v[148:149]
	v_add_f64_e32 v[16:17], v[22:23], v[16:17]
	v_fma_f64 v[22:23], v[209:210], s[2:3], -v[148:149]
	v_mul_f64_e32 v[148:149], s[40:41], v[203:204]
	s_delay_alu instid0(VALU_DEP_4) | instskip(SKIP_1) | instid1(VALU_DEP_4)
	v_add_f64_e32 v[126:127], v[126:127], v[124:125]
	v_fma_f64 v[124:125], v[213:214], s[14:15], -v[150:151]
	v_add_f64_e32 v[20:21], v[22:23], v[20:21]
	v_fma_f64 v[22:23], v[213:214], s[14:15], v[150:151]
	v_mul_f64_e32 v[150:151], s[40:41], v[207:208]
	s_delay_alu instid0(VALU_DEP_4) | instskip(SKIP_1) | instid1(VALU_DEP_4)
	v_add_f64_e32 v[124:125], v[124:125], v[18:19]
	v_mul_f64_e32 v[18:19], s[22:23], v[215:216]
	v_add_f64_e32 v[16:17], v[22:23], v[16:17]
	s_delay_alu instid0(VALU_DEP_2) | instskip(SKIP_1) | instid1(VALU_DEP_2)
	v_fma_f64 v[152:153], v[217:218], s[14:15], v[18:19]
	v_fma_f64 v[18:19], v[217:218], s[14:15], -v[18:19]
	v_add_f64_e32 v[126:127], v[152:153], v[126:127]
	s_delay_alu instid0(VALU_DEP_2) | instskip(SKIP_2) | instid1(VALU_DEP_2)
	v_add_f64_e32 v[18:19], v[18:19], v[20:21]
	v_mul_f64_e32 v[20:21], s[36:37], v[179:180]
	v_mul_f64_e32 v[152:153], s[38:39], v[211:212]
	v_fma_f64 v[22:23], v[181:182], s[14:15], -v[20:21]
	v_fma_f64 v[20:21], v[181:182], s[14:15], v[20:21]
	s_delay_alu instid0(VALU_DEP_2) | instskip(NEXT) | instid1(VALU_DEP_2)
	v_add_f64_e32 v[22:23], v[22:23], v[163:164]
	v_add_f64_e32 v[20:21], v[20:21], v[165:166]
	s_delay_alu instid0(VALU_DEP_2) | instskip(SKIP_1) | instid1(VALU_DEP_3)
	v_add_f64_e32 v[22:23], v[130:131], v[22:23]
	v_fma_f64 v[130:131], v[193:194], s[10:11], v[142:143]
	v_add_f64_e32 v[20:21], v[134:135], v[20:21]
	v_fma_f64 v[134:135], v[193:194], s[10:11], -v[142:143]
	v_mul_f64_e32 v[142:143], s[30:31], v[183:184]
	s_delay_alu instid0(VALU_DEP_4) | instskip(SKIP_1) | instid1(VALU_DEP_4)
	v_add_f64_e32 v[128:129], v[130:131], v[128:129]
	v_fma_f64 v[130:131], v[197:198], s[6:7], -v[144:145]
	v_add_f64_e32 v[132:133], v[134:135], v[132:133]
	v_fma_f64 v[134:135], v[197:198], s[6:7], v[144:145]
	s_delay_alu instid0(VALU_DEP_3) | instskip(SKIP_1) | instid1(VALU_DEP_3)
	v_add_f64_e32 v[22:23], v[130:131], v[22:23]
	v_fma_f64 v[130:131], v[201:202], s[6:7], v[146:147]
	v_add_f64_e32 v[20:21], v[134:135], v[20:21]
	v_fma_f64 v[134:135], v[201:202], s[6:7], -v[146:147]
	s_delay_alu instid0(VALU_DEP_3) | instskip(SKIP_1) | instid1(VALU_DEP_3)
	v_add_f64_e32 v[128:129], v[130:131], v[128:129]
	v_fma_f64 v[130:131], v[205:206], s[16:17], -v[148:149]
	v_add_f64_e32 v[132:133], v[134:135], v[132:133]
	v_fma_f64 v[134:135], v[205:206], s[16:17], v[148:149]
	s_delay_alu instid0(VALU_DEP_3) | instskip(SKIP_1) | instid1(VALU_DEP_3)
	v_add_f64_e32 v[22:23], v[130:131], v[22:23]
	v_fma_f64 v[130:131], v[209:210], s[16:17], v[150:151]
	v_add_f64_e32 v[20:21], v[134:135], v[20:21]
	v_fma_f64 v[134:135], v[209:210], s[16:17], -v[150:151]
	s_delay_alu instid0(VALU_DEP_3) | instskip(SKIP_1) | instid1(VALU_DEP_3)
	v_add_f64_e32 v[130:131], v[130:131], v[128:129]
	v_fma_f64 v[128:129], v[213:214], s[2:3], -v[152:153]
	v_add_f64_e32 v[132:133], v[134:135], v[132:133]
	v_fma_f64 v[134:135], v[213:214], s[2:3], v[152:153]
	s_delay_alu instid0(VALU_DEP_3) | instskip(SKIP_1) | instid1(VALU_DEP_3)
	v_add_f64_e32 v[128:129], v[128:129], v[22:23]
	v_mul_f64_e32 v[22:23], s[38:39], v[215:216]
	v_add_f64_e32 v[20:21], v[134:135], v[20:21]
	v_fma_f64 v[134:135], v[185:186], s[6:7], v[142:143]
	v_fma_f64 v[142:143], v[185:186], s[6:7], -v[142:143]
	s_delay_alu instid0(VALU_DEP_4) | instskip(SKIP_1) | instid1(VALU_DEP_4)
	v_fma_f64 v[154:155], v[217:218], s[2:3], v[22:23]
	v_fma_f64 v[22:23], v[217:218], s[2:3], -v[22:23]
	v_add_f64_e32 v[134:135], v[134:135], v[138:139]
	v_mul_f64_e32 v[138:139], s[20:21], v[187:188]
	v_add_f64_e32 v[136:137], v[142:143], v[136:137]
	v_add_f64_e32 v[130:131], v[154:155], v[130:131]
	;; [unrolled: 1-line block ×3, first 2 shown]
	v_fma_f64 v[132:133], v[181:182], s[6:7], -v[140:141]
	v_fma_f64 v[144:145], v[189:190], s[2:3], -v[138:139]
	v_fma_f64 v[140:141], v[181:182], s[6:7], v[140:141]
	v_fma_f64 v[138:139], v[189:190], s[2:3], v[138:139]
	s_delay_alu instid0(VALU_DEP_4) | instskip(NEXT) | instid1(VALU_DEP_3)
	v_add_f64_e32 v[132:133], v[132:133], v[167:168]
	v_add_f64_e32 v[140:141], v[140:141], v[169:170]
	v_mul_f64_e32 v[169:170], s[30:31], v[215:216]
	s_delay_alu instid0(VALU_DEP_3) | instskip(SKIP_1) | instid1(VALU_DEP_4)
	v_add_f64_e32 v[132:133], v[144:145], v[132:133]
	v_mul_f64_e32 v[144:145], s[20:21], v[191:192]
	v_add_f64_e32 v[138:139], v[138:139], v[140:141]
	s_delay_alu instid0(VALU_DEP_2) | instskip(SKIP_2) | instid1(VALU_DEP_3)
	v_fma_f64 v[146:147], v[193:194], s[2:3], v[144:145]
	v_fma_f64 v[140:141], v[193:194], s[2:3], -v[144:145]
	v_mul_f64_e32 v[144:145], s[34:35], v[179:180]
	v_add_f64_e32 v[134:135], v[146:147], v[134:135]
	v_mul_f64_e32 v[146:147], s[40:41], v[195:196]
	s_delay_alu instid0(VALU_DEP_4) | instskip(NEXT) | instid1(VALU_DEP_2)
	v_add_f64_e32 v[136:137], v[140:141], v[136:137]
	v_fma_f64 v[148:149], v[197:198], s[16:17], -v[146:147]
	v_fma_f64 v[140:141], v[197:198], s[16:17], v[146:147]
	v_mul_f64_e32 v[146:147], s[34:35], v[183:184]
	s_delay_alu instid0(VALU_DEP_3) | instskip(SKIP_1) | instid1(VALU_DEP_4)
	v_add_f64_e32 v[132:133], v[148:149], v[132:133]
	v_mul_f64_e32 v[148:149], s[40:41], v[199:200]
	v_add_f64_e32 v[138:139], v[140:141], v[138:139]
	s_delay_alu instid0(VALU_DEP_2) | instskip(SKIP_2) | instid1(VALU_DEP_3)
	v_fma_f64 v[150:151], v[201:202], s[16:17], v[148:149]
	v_fma_f64 v[140:141], v[201:202], s[16:17], -v[148:149]
	v_mul_f64_e32 v[148:149], s[22:23], v[187:188]
	v_add_f64_e32 v[134:135], v[150:151], v[134:135]
	v_mul_f64_e32 v[150:151], s[34:35], v[203:204]
	s_delay_alu instid0(VALU_DEP_4) | instskip(NEXT) | instid1(VALU_DEP_2)
	v_add_f64_e32 v[136:137], v[140:141], v[136:137]
	v_fma_f64 v[152:153], v[205:206], s[10:11], -v[150:151]
	v_fma_f64 v[140:141], v[205:206], s[10:11], v[150:151]
	v_fma_f64 v[150:151], v[189:190], s[14:15], -v[148:149]
	v_fma_f64 v[148:149], v[189:190], s[14:15], v[148:149]
	s_delay_alu instid0(VALU_DEP_4) | instskip(SKIP_2) | instid1(VALU_DEP_2)
	v_add_f64_e32 v[132:133], v[152:153], v[132:133]
	v_mul_f64_e32 v[152:153], s[34:35], v[207:208]
	v_add_f64_e32 v[138:139], v[140:141], v[138:139]
	v_fma_f64 v[154:155], v[209:210], s[10:11], v[152:153]
	v_fma_f64 v[140:141], v[209:210], s[10:11], -v[152:153]
	s_delay_alu instid0(VALU_DEP_2) | instskip(SKIP_1) | instid1(VALU_DEP_3)
	v_add_f64_e32 v[134:135], v[154:155], v[134:135]
	v_mul_f64_e32 v[154:155], s[18:19], v[211:212]
	v_add_f64_e32 v[140:141], v[140:141], v[136:137]
	s_delay_alu instid0(VALU_DEP_2) | instskip(SKIP_1) | instid1(VALU_DEP_2)
	v_fma_f64 v[163:164], v[213:214], s[12:13], -v[154:155]
	v_fma_f64 v[136:137], v[213:214], s[12:13], v[154:155]
	v_add_f64_e32 v[132:133], v[163:164], v[132:133]
	v_mul_f64_e32 v[163:164], s[18:19], v[215:216]
	s_delay_alu instid0(VALU_DEP_3) | instskip(NEXT) | instid1(VALU_DEP_2)
	v_add_f64_e32 v[136:137], v[136:137], v[138:139]
	v_fma_f64 v[142:143], v[217:218], s[12:13], -v[163:164]
	v_fma_f64 v[165:166], v[217:218], s[12:13], v[163:164]
	s_delay_alu instid0(VALU_DEP_2) | instskip(SKIP_2) | instid1(VALU_DEP_4)
	v_add_f64_e32 v[138:139], v[142:143], v[140:141]
	v_fma_f64 v[140:141], v[181:182], s[10:11], -v[144:145]
	v_fma_f64 v[142:143], v[185:186], s[10:11], v[146:147]
	v_add_f64_e32 v[134:135], v[165:166], v[134:135]
	v_fma_f64 v[144:145], v[181:182], s[10:11], v[144:145]
	v_fma_f64 v[146:147], v[185:186], s[10:11], -v[146:147]
	v_add_f64_e32 v[140:141], v[140:141], v[171:172]
	v_add_f64_e32 v[142:143], v[142:143], v[173:174]
	s_delay_alu instid0(VALU_DEP_4) | instskip(NEXT) | instid1(VALU_DEP_4)
	v_add_f64_e32 v[144:145], v[144:145], v[175:176]
	v_add_f64_e32 v[146:147], v[146:147], v[177:178]
	v_add_f64_e64 v[175:176], v[40:41], -v[44:45]
	v_add_f64_e32 v[177:178], v[42:43], v[46:47]
	v_add_f64_e32 v[140:141], v[150:151], v[140:141]
	v_mul_f64_e32 v[150:151], s[22:23], v[191:192]
	v_add_f64_e32 v[144:145], v[148:149], v[144:145]
	v_mul_f64_e32 v[179:180], s[26:27], v[175:176]
	s_delay_alu instid0(VALU_DEP_3) | instskip(SKIP_1) | instid1(VALU_DEP_2)
	v_fma_f64 v[152:153], v[193:194], s[14:15], v[150:151]
	v_fma_f64 v[150:151], v[193:194], s[14:15], -v[150:151]
	v_add_f64_e32 v[142:143], v[152:153], v[142:143]
	v_mul_f64_e32 v[152:153], s[38:39], v[195:196]
	s_delay_alu instid0(VALU_DEP_3) | instskip(NEXT) | instid1(VALU_DEP_2)
	v_add_f64_e32 v[146:147], v[150:151], v[146:147]
	v_fma_f64 v[154:155], v[197:198], s[2:3], -v[152:153]
	v_fma_f64 v[152:153], v[197:198], s[2:3], v[152:153]
	s_delay_alu instid0(VALU_DEP_2) | instskip(SKIP_1) | instid1(VALU_DEP_3)
	v_add_f64_e32 v[140:141], v[154:155], v[140:141]
	v_mul_f64_e32 v[154:155], s[38:39], v[199:200]
	v_add_f64_e32 v[144:145], v[152:153], v[144:145]
	s_delay_alu instid0(VALU_DEP_2) | instskip(SKIP_1) | instid1(VALU_DEP_2)
	v_fma_f64 v[163:164], v[201:202], s[2:3], v[154:155]
	v_fma_f64 v[154:155], v[201:202], s[2:3], -v[154:155]
	v_add_f64_e32 v[142:143], v[163:164], v[142:143]
	v_mul_f64_e32 v[163:164], s[18:19], v[203:204]
	s_delay_alu instid0(VALU_DEP_3) | instskip(SKIP_1) | instid1(VALU_DEP_3)
	v_add_f64_e32 v[146:147], v[154:155], v[146:147]
	v_fma_f64 v[154:155], v[217:218], s[6:7], -v[169:170]
	v_fma_f64 v[165:166], v[205:206], s[12:13], -v[163:164]
	v_fma_f64 v[148:149], v[205:206], s[12:13], v[163:164]
	v_add_f64_e64 v[163:164], v[36:37], -v[48:49]
	s_delay_alu instid0(VALU_DEP_3) | instskip(SKIP_1) | instid1(VALU_DEP_4)
	v_add_f64_e32 v[140:141], v[165:166], v[140:141]
	v_mul_f64_e32 v[165:166], s[18:19], v[207:208]
	v_add_f64_e32 v[144:145], v[148:149], v[144:145]
	v_add_f64_e64 v[148:149], v[32:33], -v[52:53]
	s_delay_alu instid0(VALU_DEP_3) | instskip(SKIP_2) | instid1(VALU_DEP_3)
	v_fma_f64 v[167:168], v[209:210], s[12:13], v[165:166]
	v_fma_f64 v[150:151], v[209:210], s[12:13], -v[165:166]
	v_add_f64_e32 v[165:166], v[38:39], v[50:51]
	v_add_f64_e32 v[142:143], v[167:168], v[142:143]
	v_mul_f64_e32 v[167:168], s[30:31], v[211:212]
	s_delay_alu instid0(VALU_DEP_4) | instskip(SKIP_1) | instid1(VALU_DEP_3)
	v_add_f64_e32 v[146:147], v[150:151], v[146:147]
	v_add_f64_e32 v[150:151], v[34:35], v[54:55]
	v_fma_f64 v[171:172], v[213:214], s[6:7], -v[167:168]
	v_fma_f64 v[152:153], v[213:214], s[6:7], v[167:168]
	s_delay_alu instid0(VALU_DEP_4)
	v_add_f64_e32 v[146:147], v[154:155], v[146:147]
	v_add_f64_e64 v[154:155], v[38:39], -v[50:51]
	v_mul_f64_e32 v[167:168], s[22:23], v[163:164]
	v_add_f64_e32 v[140:141], v[171:172], v[140:141]
	v_fma_f64 v[171:172], v[217:218], s[6:7], v[169:170]
	v_add_f64_e32 v[144:145], v[152:153], v[144:145]
	v_mul_f64_e32 v[152:153], s[18:19], v[148:149]
	v_mul_f64_e32 v[161:162], s[22:23], v[154:155]
	v_add_f64_e64 v[169:170], v[42:43], -v[46:47]
	v_add_f64_e32 v[142:143], v[171:172], v[142:143]
	ds_store_b128 v76, v[120:123] offset:64
	ds_store_b128 v76, v[124:127] offset:96
	;; [unrolled: 1-line block ×12, first 2 shown]
	ds_store_b128 v76, v[72:75]
	v_add_f64_e64 v[0:1], v[70:71], -v[66:67]
	v_add_f64_e32 v[16:17], v[68:69], v[64:65]
	v_add_f64_e32 v[120:121], v[24:25], v[60:61]
	v_mul_f64_e32 v[122:123], s[20:21], v[118:119]
	v_add_f64_e64 v[124:125], v[24:25], -v[60:61]
	v_add_f64_e64 v[130:131], v[30:31], -v[58:59]
	v_add_f64_e32 v[126:127], v[26:27], v[62:63]
	v_add_f64_e32 v[132:133], v[28:29], v[56:57]
	v_add_f64_e64 v[136:137], v[28:29], -v[56:57]
	v_add_f64_e32 v[138:139], v[30:31], v[58:59]
	v_add_f64_e64 v[142:143], v[34:35], -v[54:55]
	v_add_f64_e32 v[144:145], v[32:33], v[52:53]
	v_add_f64_e32 v[171:172], v[40:41], v[44:45]
	v_mul_f64_e32 v[173:174], s[26:27], v[169:170]
	v_add_f64_e32 v[26:27], v[102:103], v[26:27]
	v_mul_f64_e32 v[2:3], s[28:29], v[0:1]
	v_mul_f64_e32 v[8:9], s[20:21], v[0:1]
	;; [unrolled: 1-line block ×10, first 2 shown]
	v_add_f64_e32 v[26:27], v[26:27], v[30:31]
	v_fma_f64 v[18:19], v[16:17], s[10:11], -v[2:3]
	v_fma_f64 v[2:3], v[16:17], s[10:11], v[2:3]
	v_fma_f64 v[20:21], v[16:17], s[2:3], -v[8:9]
	v_fma_f64 v[8:9], v[16:17], s[2:3], v[8:9]
	v_fma_f64 v[22:23], v[16:17], s[6:7], -v[10:11]
	v_fma_f64 v[10:11], v[16:17], s[6:7], v[10:11]
	v_fma_f64 v[72:73], v[16:17], s[12:13], -v[12:13]
	v_fma_f64 v[12:13], v[16:17], s[12:13], v[12:13]
	v_fma_f64 v[74:75], v[16:17], s[14:15], -v[14:15]
	v_fma_f64 v[14:15], v[16:17], s[14:15], v[14:15]
	v_fma_f64 v[76:77], v[16:17], s[16:17], -v[0:1]
	v_fma_f64 v[0:1], v[16:17], s[16:17], v[0:1]
	v_add_f64_e64 v[16:17], v[68:69], -v[64:65]
	v_fma_f64 v[30:31], v[126:127], s[2:3], -v[128:129]
	v_add_f64_e32 v[26:27], v[26:27], v[34:35]
	v_fma_f64 v[34:35], v[138:139], s[6:7], -v[140:141]
	v_add_f64_e32 v[18:19], v[4:5], v[18:19]
	v_add_f64_e32 v[20:21], v[4:5], v[20:21]
	;; [unrolled: 1-line block ×9, first 2 shown]
	v_mul_f64_e32 v[78:79], s[28:29], v[16:17]
	v_mul_f64_e32 v[80:81], s[20:21], v[16:17]
	;; [unrolled: 1-line block ×6, first 2 shown]
	v_fma_f64 v[0:1], v[120:121], s[2:3], -v[122:123]
	v_mul_f64_e32 v[14:15], s[26:27], v[130:131]
	v_add_f64_e32 v[26:27], v[26:27], v[38:39]
	v_fma_f64 v[38:39], v[150:151], s[12:13], -v[152:153]
	v_fma_f64 v[90:91], v[88:89], s[10:11], v[78:79]
	v_fma_f64 v[78:79], v[88:89], s[10:11], -v[78:79]
	v_fma_f64 v[92:93], v[88:89], s[2:3], v[80:81]
	;; [unrolled: 2-line block ×3, first 2 shown]
	v_fma_f64 v[96:97], v[88:89], s[12:13], v[84:85]
	v_fma_f64 v[82:83], v[88:89], s[6:7], -v[82:83]
	v_fma_f64 v[84:85], v[88:89], s[12:13], -v[84:85]
	v_fma_f64 v[98:99], v[88:89], s[14:15], v[86:87]
	v_fma_f64 v[86:87], v[88:89], s[14:15], -v[86:87]
	v_fma_f64 v[100:101], v[88:89], s[16:17], v[16:17]
	v_fma_f64 v[16:17], v[88:89], s[16:17], -v[16:17]
	v_add_f64_e32 v[88:89], v[4:5], v[68:69]
	v_add_f64_e32 v[0:1], v[0:1], v[18:19]
	;; [unrolled: 1-line block ×12, first 2 shown]
	v_fma_f64 v[2:3], v[126:127], s[2:3], v[128:129]
	v_fma_f64 v[4:5], v[132:133], s[6:7], -v[134:135]
	v_mul_f64_e32 v[10:11], s[18:19], v[118:119]
	v_add_f64_e32 v[116:117], v[6:7], v[16:17]
	v_mul_f64_e32 v[12:13], s[18:19], v[124:125]
	v_fma_f64 v[16:17], v[132:133], s[16:17], -v[14:15]
	v_add_f64_e32 v[82:83], v[6:7], v[82:83]
	v_add_f64_e32 v[84:85], v[6:7], v[84:85]
	;; [unrolled: 1-line block ×10, first 2 shown]
	v_fma_f64 v[4:5], v[138:139], s[6:7], v[140:141]
	v_fma_f64 v[6:7], v[126:127], s[12:13], v[12:13]
	v_add_f64_e32 v[24:25], v[24:25], v[28:29]
	v_fma_f64 v[28:29], v[120:121], s[2:3], v[122:123]
	v_add_f64_e32 v[26:27], v[26:27], v[50:51]
	v_add_f64_e32 v[30:31], v[34:35], v[30:31]
	v_fma_f64 v[34:35], v[165:166], s[14:15], -v[167:168]
	v_add_f64_e32 v[2:3], v[4:5], v[2:3]
	v_fma_f64 v[4:5], v[144:145], s[12:13], -v[146:147]
	v_add_f64_e32 v[6:7], v[6:7], v[70:71]
	v_add_f64_e32 v[24:25], v[24:25], v[32:33]
	v_fma_f64 v[32:33], v[132:133], s[6:7], v[134:135]
	v_add_f64_e32 v[28:29], v[28:29], v[90:91]
	v_add_f64_e32 v[26:27], v[26:27], v[54:55]
	;; [unrolled: 1-line block ×3, first 2 shown]
	v_fma_f64 v[38:39], v[177:178], s[16:17], -v[179:180]
	v_add_f64_e32 v[0:1], v[4:5], v[0:1]
	v_fma_f64 v[4:5], v[150:151], s[12:13], v[152:153]
	v_add_f64_e32 v[24:25], v[24:25], v[36:37]
	v_fma_f64 v[36:37], v[144:145], s[12:13], v[146:147]
	v_add_f64_e32 v[28:29], v[32:33], v[28:29]
	v_add_f64_e32 v[26:27], v[26:27], v[58:59]
	v_fma_f64 v[32:33], v[159:160], s[14:15], v[161:162]
	v_add_f64_e32 v[30:31], v[34:35], v[30:31]
	v_add_f64_e32 v[2:3], v[4:5], v[2:3]
	v_fma_f64 v[4:5], v[159:160], s[14:15], -v[161:162]
	v_add_f64_e32 v[24:25], v[24:25], v[40:41]
	v_add_f64_e32 v[28:29], v[36:37], v[28:29]
	;; [unrolled: 1-line block ×3, first 2 shown]
	v_fma_f64 v[36:37], v[171:172], s[16:17], v[173:174]
	v_add_f64_e32 v[30:31], v[38:39], v[30:31]
	v_add_f64_e32 v[0:1], v[4:5], v[0:1]
	v_fma_f64 v[4:5], v[165:166], s[14:15], v[167:168]
	v_add_f64_e32 v[24:25], v[24:25], v[44:45]
	v_add_f64_e32 v[28:29], v[32:33], v[28:29]
	;; [unrolled: 1-line block ×3, first 2 shown]
	v_lshrrev_b32_e32 v32, 1, v157
	s_delay_alu instid0(VALU_DEP_1) | instskip(NEXT) | instid1(VALU_DEP_1)
	v_mul_u32_u24_e32 v32, 26, v32
	v_or_b32_e32 v32, v32, v158
	v_subrev_nc_u32_e32 v158, 26, v112
	s_delay_alu instid0(VALU_DEP_2) | instskip(SKIP_4) | instid1(VALU_DEP_3)
	v_lshl_add_u32 v32, v32, 4, 0
	v_add_f64_e32 v[2:3], v[4:5], v[2:3]
	v_fma_f64 v[4:5], v[171:172], s[16:17], -v[173:174]
	v_add_f64_e32 v[24:25], v[24:25], v[48:49]
	v_add_f64_e32 v[28:29], v[36:37], v[28:29]
	;; [unrolled: 1-line block ×3, first 2 shown]
	v_fma_f64 v[4:5], v[177:178], s[16:17], v[179:180]
	s_delay_alu instid0(VALU_DEP_4) | instskip(NEXT) | instid1(VALU_DEP_2)
	v_add_f64_e32 v[24:25], v[24:25], v[52:53]
	v_add_f64_e32 v[2:3], v[4:5], v[2:3]
	v_fma_f64 v[4:5], v[120:121], s[12:13], -v[10:11]
	v_fma_f64 v[10:11], v[120:121], s[12:13], v[10:11]
	s_delay_alu instid0(VALU_DEP_4) | instskip(NEXT) | instid1(VALU_DEP_3)
	v_add_f64_e32 v[24:25], v[24:25], v[56:57]
	v_add_f64_e32 v[4:5], v[4:5], v[20:21]
	s_delay_alu instid0(VALU_DEP_3)
	v_add_f64_e32 v[8:9], v[10:11], v[8:9]
	v_fma_f64 v[10:11], v[126:127], s[12:13], -v[12:13]
	v_fma_f64 v[12:13], v[132:133], s[16:17], v[14:15]
	v_add_f64_e32 v[24:25], v[24:25], v[60:61]
	v_add_f64_e32 v[4:5], v[16:17], v[4:5]
	v_mul_f64_e32 v[16:17], s[26:27], v[136:137]
	v_add_f64_e32 v[10:11], v[10:11], v[78:79]
	v_add_f64_e32 v[8:9], v[12:13], v[8:9]
	;; [unrolled: 1-line block ×3, first 2 shown]
	s_delay_alu instid0(VALU_DEP_4) | instskip(SKIP_2) | instid1(VALU_DEP_3)
	v_fma_f64 v[18:19], v[138:139], s[16:17], v[16:17]
	v_fma_f64 v[12:13], v[138:139], s[16:17], -v[16:17]
	v_mul_f64_e32 v[16:17], s[26:27], v[118:119]
	v_add_f64_e32 v[6:7], v[18:19], v[6:7]
	v_mul_f64_e32 v[18:19], s[36:37], v[142:143]
	s_delay_alu instid0(VALU_DEP_4) | instskip(NEXT) | instid1(VALU_DEP_2)
	v_add_f64_e32 v[10:11], v[12:13], v[10:11]
	v_fma_f64 v[20:21], v[144:145], s[14:15], -v[18:19]
	v_fma_f64 v[12:13], v[144:145], s[14:15], v[18:19]
	v_mul_f64_e32 v[18:19], s[26:27], v[124:125]
	s_delay_alu instid0(VALU_DEP_3) | instskip(SKIP_1) | instid1(VALU_DEP_4)
	v_add_f64_e32 v[4:5], v[20:21], v[4:5]
	v_mul_f64_e32 v[20:21], s[36:37], v[148:149]
	v_add_f64_e32 v[8:9], v[12:13], v[8:9]
	s_delay_alu instid0(VALU_DEP_2) | instskip(SKIP_2) | instid1(VALU_DEP_3)
	v_fma_f64 v[68:69], v[150:151], s[14:15], v[20:21]
	v_fma_f64 v[12:13], v[150:151], s[14:15], -v[20:21]
	v_mul_f64_e32 v[20:21], s[42:43], v[130:131]
	v_add_f64_e32 v[6:7], v[68:69], v[6:7]
	v_mul_f64_e32 v[68:69], s[30:31], v[154:155]
	s_delay_alu instid0(VALU_DEP_4) | instskip(NEXT) | instid1(VALU_DEP_2)
	v_add_f64_e32 v[10:11], v[12:13], v[10:11]
	v_fma_f64 v[70:71], v[159:160], s[6:7], -v[68:69]
	v_fma_f64 v[12:13], v[159:160], s[6:7], v[68:69]
	s_delay_alu instid0(VALU_DEP_2) | instskip(SKIP_1) | instid1(VALU_DEP_3)
	v_add_f64_e32 v[4:5], v[70:71], v[4:5]
	v_mul_f64_e32 v[70:71], s[30:31], v[163:164]
	v_add_f64_e32 v[8:9], v[12:13], v[8:9]
	s_delay_alu instid0(VALU_DEP_2) | instskip(SKIP_1) | instid1(VALU_DEP_2)
	v_fma_f64 v[76:77], v[165:166], s[6:7], v[70:71]
	v_fma_f64 v[12:13], v[165:166], s[6:7], -v[70:71]
	v_add_f64_e32 v[6:7], v[76:77], v[6:7]
	v_mul_f64_e32 v[76:77], s[34:35], v[169:170]
	s_delay_alu instid0(VALU_DEP_3) | instskip(NEXT) | instid1(VALU_DEP_2)
	v_add_f64_e32 v[10:11], v[12:13], v[10:11]
	v_fma_f64 v[181:182], v[171:172], s[10:11], -v[76:77]
	v_fma_f64 v[12:13], v[171:172], s[10:11], v[76:77]
	s_delay_alu instid0(VALU_DEP_2) | instskip(SKIP_1) | instid1(VALU_DEP_3)
	v_add_f64_e32 v[4:5], v[181:182], v[4:5]
	v_mul_f64_e32 v[181:182], s[34:35], v[175:176]
	v_add_f64_e32 v[8:9], v[12:13], v[8:9]
	v_fma_f64 v[12:13], v[120:121], s[16:17], -v[16:17]
	v_fma_f64 v[16:17], v[120:121], s[16:17], v[16:17]
	s_delay_alu instid0(VALU_DEP_4) | instskip(SKIP_1) | instid1(VALU_DEP_4)
	v_fma_f64 v[14:15], v[177:178], s[10:11], -v[181:182]
	v_fma_f64 v[183:184], v[177:178], s[10:11], v[181:182]
	v_add_f64_e32 v[12:13], v[12:13], v[22:23]
	v_fma_f64 v[22:23], v[132:133], s[12:13], -v[20:21]
	v_add_f64_e32 v[16:17], v[16:17], v[92:93]
	v_fma_f64 v[20:21], v[132:133], s[12:13], v[20:21]
	v_add_f64_e32 v[10:11], v[14:15], v[10:11]
	v_fma_f64 v[14:15], v[126:127], s[16:17], v[18:19]
	v_fma_f64 v[18:19], v[126:127], s[16:17], -v[18:19]
	v_add_f64_e32 v[12:13], v[22:23], v[12:13]
	v_mul_f64_e32 v[22:23], s[42:43], v[136:137]
	v_add_f64_e32 v[16:17], v[20:21], v[16:17]
	v_add_f64_e32 v[6:7], v[183:184], v[6:7]
	v_add_f64_e32 v[14:15], v[14:15], v[80:81]
	v_add_f64_e32 v[18:19], v[18:19], v[82:83]
	v_fma_f64 v[68:69], v[138:139], s[12:13], v[22:23]
	v_fma_f64 v[20:21], v[138:139], s[12:13], -v[22:23]
	s_delay_alu instid0(VALU_DEP_2) | instskip(SKIP_1) | instid1(VALU_DEP_3)
	v_add_f64_e32 v[14:15], v[68:69], v[14:15]
	v_mul_f64_e32 v[68:69], s[34:35], v[142:143]
	v_add_f64_e32 v[18:19], v[20:21], v[18:19]
	s_delay_alu instid0(VALU_DEP_2) | instskip(SKIP_2) | instid1(VALU_DEP_3)
	v_fma_f64 v[70:71], v[144:145], s[10:11], -v[68:69]
	v_fma_f64 v[20:21], v[144:145], s[10:11], v[68:69]
	v_mul_f64_e32 v[68:69], s[36:37], v[118:119]
	v_add_f64_e32 v[12:13], v[70:71], v[12:13]
	v_mul_f64_e32 v[70:71], s[34:35], v[148:149]
	s_delay_alu instid0(VALU_DEP_4) | instskip(NEXT) | instid1(VALU_DEP_2)
	v_add_f64_e32 v[16:17], v[20:21], v[16:17]
	v_fma_f64 v[76:77], v[150:151], s[10:11], v[70:71]
	v_fma_f64 v[20:21], v[150:151], s[10:11], -v[70:71]
	v_mul_f64_e32 v[70:71], s[36:37], v[124:125]
	s_delay_alu instid0(VALU_DEP_3) | instskip(SKIP_1) | instid1(VALU_DEP_4)
	v_add_f64_e32 v[14:15], v[76:77], v[14:15]
	v_mul_f64_e32 v[76:77], s[20:21], v[154:155]
	v_add_f64_e32 v[18:19], v[20:21], v[18:19]
	s_delay_alu instid0(VALU_DEP_2) | instskip(SKIP_1) | instid1(VALU_DEP_2)
	v_fma_f64 v[78:79], v[159:160], s[2:3], -v[76:77]
	v_fma_f64 v[20:21], v[159:160], s[2:3], v[76:77]
	v_add_f64_e32 v[12:13], v[78:79], v[12:13]
	v_mul_f64_e32 v[78:79], s[20:21], v[163:164]
	s_delay_alu instid0(VALU_DEP_3) | instskip(NEXT) | instid1(VALU_DEP_2)
	v_add_f64_e32 v[16:17], v[20:21], v[16:17]
	v_fma_f64 v[80:81], v[165:166], s[2:3], v[78:79]
	v_fma_f64 v[20:21], v[165:166], s[2:3], -v[78:79]
	s_delay_alu instid0(VALU_DEP_2) | instskip(SKIP_1) | instid1(VALU_DEP_3)
	v_add_f64_e32 v[14:15], v[80:81], v[14:15]
	v_mul_f64_e32 v[80:81], s[22:23], v[169:170]
	v_add_f64_e32 v[18:19], v[20:21], v[18:19]
	s_delay_alu instid0(VALU_DEP_2) | instskip(SKIP_1) | instid1(VALU_DEP_2)
	v_fma_f64 v[20:21], v[171:172], s[14:15], v[80:81]
	v_fma_f64 v[181:182], v[171:172], s[14:15], -v[80:81]
	v_add_f64_e32 v[16:17], v[20:21], v[16:17]
	v_fma_f64 v[20:21], v[120:121], s[14:15], -v[68:69]
	s_delay_alu instid0(VALU_DEP_3) | instskip(SKIP_2) | instid1(VALU_DEP_4)
	v_add_f64_e32 v[12:13], v[181:182], v[12:13]
	v_mul_f64_e32 v[181:182], s[22:23], v[175:176]
	v_fma_f64 v[68:69], v[120:121], s[14:15], v[68:69]
	v_add_f64_e32 v[20:21], v[20:21], v[72:73]
	v_mul_f64_e32 v[72:73], s[34:35], v[130:131]
	s_delay_alu instid0(VALU_DEP_4) | instskip(NEXT) | instid1(VALU_DEP_4)
	v_fma_f64 v[22:23], v[177:178], s[14:15], -v[181:182]
	v_add_f64_e32 v[68:69], v[68:69], v[96:97]
	v_fma_f64 v[183:184], v[177:178], s[14:15], v[181:182]
	s_delay_alu instid0(VALU_DEP_4) | instskip(NEXT) | instid1(VALU_DEP_4)
	v_fma_f64 v[76:77], v[132:133], s[10:11], -v[72:73]
	v_add_f64_e32 v[18:19], v[22:23], v[18:19]
	v_fma_f64 v[22:23], v[126:127], s[14:15], v[70:71]
	v_fma_f64 v[70:71], v[126:127], s[14:15], -v[70:71]
	v_fma_f64 v[72:73], v[132:133], s[10:11], v[72:73]
	v_add_f64_e32 v[14:15], v[183:184], v[14:15]
	v_add_f64_e32 v[20:21], v[76:77], v[20:21]
	v_mul_f64_e32 v[76:77], s[34:35], v[136:137]
	v_add_f64_e32 v[22:23], v[22:23], v[94:95]
	v_add_f64_e32 v[70:71], v[70:71], v[84:85]
	;; [unrolled: 1-line block ×3, first 2 shown]
	s_delay_alu instid0(VALU_DEP_4) | instskip(SKIP_1) | instid1(VALU_DEP_2)
	v_fma_f64 v[78:79], v[138:139], s[10:11], v[76:77]
	v_fma_f64 v[72:73], v[138:139], s[10:11], -v[76:77]
	v_add_f64_e32 v[22:23], v[78:79], v[22:23]
	v_mul_f64_e32 v[78:79], s[24:25], v[142:143]
	s_delay_alu instid0(VALU_DEP_3) | instskip(NEXT) | instid1(VALU_DEP_2)
	v_add_f64_e32 v[70:71], v[72:73], v[70:71]
	v_fma_f64 v[80:81], v[144:145], s[6:7], -v[78:79]
	v_fma_f64 v[72:73], v[144:145], s[6:7], v[78:79]
	v_mul_f64_e32 v[78:79], s[30:31], v[124:125]
	s_delay_alu instid0(VALU_DEP_3) | instskip(SKIP_1) | instid1(VALU_DEP_4)
	v_add_f64_e32 v[20:21], v[80:81], v[20:21]
	v_mul_f64_e32 v[80:81], s[24:25], v[148:149]
	v_add_f64_e32 v[68:69], v[72:73], v[68:69]
	s_delay_alu instid0(VALU_DEP_2) | instskip(SKIP_2) | instid1(VALU_DEP_3)
	v_fma_f64 v[82:83], v[150:151], s[6:7], v[80:81]
	v_fma_f64 v[72:73], v[150:151], s[6:7], -v[80:81]
	v_mul_f64_e32 v[80:81], s[20:21], v[130:131]
	v_add_f64_e32 v[22:23], v[82:83], v[22:23]
	v_mul_f64_e32 v[82:83], s[40:41], v[154:155]
	s_delay_alu instid0(VALU_DEP_4) | instskip(NEXT) | instid1(VALU_DEP_2)
	v_add_f64_e32 v[70:71], v[72:73], v[70:71]
	v_fma_f64 v[92:93], v[159:160], s[16:17], -v[82:83]
	v_fma_f64 v[72:73], v[159:160], s[16:17], v[82:83]
	v_fma_f64 v[82:83], v[132:133], s[2:3], -v[80:81]
	v_fma_f64 v[80:81], v[132:133], s[2:3], v[80:81]
	s_delay_alu instid0(VALU_DEP_4) | instskip(SKIP_2) | instid1(VALU_DEP_2)
	v_add_f64_e32 v[20:21], v[92:93], v[20:21]
	v_mul_f64_e32 v[92:93], s[40:41], v[163:164]
	v_add_f64_e32 v[68:69], v[72:73], v[68:69]
	v_fma_f64 v[94:95], v[165:166], s[16:17], v[92:93]
	v_fma_f64 v[72:73], v[165:166], s[16:17], -v[92:93]
	s_delay_alu instid0(VALU_DEP_2) | instskip(SKIP_1) | instid1(VALU_DEP_3)
	v_add_f64_e32 v[22:23], v[94:95], v[22:23]
	v_mul_f64_e32 v[94:95], s[38:39], v[169:170]
	v_add_f64_e32 v[70:71], v[72:73], v[70:71]
	s_delay_alu instid0(VALU_DEP_2) | instskip(SKIP_1) | instid1(VALU_DEP_2)
	v_fma_f64 v[181:182], v[171:172], s[2:3], -v[94:95]
	v_fma_f64 v[72:73], v[171:172], s[2:3], v[94:95]
	v_add_f64_e32 v[20:21], v[181:182], v[20:21]
	v_mul_f64_e32 v[181:182], s[38:39], v[175:176]
	s_delay_alu instid0(VALU_DEP_3) | instskip(NEXT) | instid1(VALU_DEP_2)
	v_add_f64_e32 v[68:69], v[72:73], v[68:69]
	v_fma_f64 v[76:77], v[177:178], s[2:3], -v[181:182]
	v_fma_f64 v[183:184], v[177:178], s[2:3], v[181:182]
	s_delay_alu instid0(VALU_DEP_2) | instskip(SKIP_1) | instid1(VALU_DEP_3)
	v_add_f64_e32 v[70:71], v[76:77], v[70:71]
	v_mul_f64_e32 v[76:77], s[30:31], v[118:119]
	v_add_f64_e32 v[22:23], v[183:184], v[22:23]
	s_delay_alu instid0(VALU_DEP_2) | instskip(SKIP_1) | instid1(VALU_DEP_2)
	v_fma_f64 v[72:73], v[120:121], s[6:7], -v[76:77]
	v_fma_f64 v[76:77], v[120:121], s[6:7], v[76:77]
	v_add_f64_e32 v[72:73], v[72:73], v[74:75]
	v_fma_f64 v[74:75], v[126:127], s[6:7], v[78:79]
	s_delay_alu instid0(VALU_DEP_3) | instskip(SKIP_1) | instid1(VALU_DEP_4)
	v_add_f64_e32 v[76:77], v[76:77], v[106:107]
	v_fma_f64 v[78:79], v[126:127], s[6:7], -v[78:79]
	v_add_f64_e32 v[72:73], v[82:83], v[72:73]
	v_mul_f64_e32 v[82:83], s[20:21], v[136:137]
	v_add_f64_e32 v[74:75], v[74:75], v[98:99]
	s_delay_alu instid0(VALU_DEP_4) | instskip(SKIP_4) | instid1(VALU_DEP_2)
	v_add_f64_e32 v[78:79], v[78:79], v[86:87]
	v_add_f64_e32 v[76:77], v[80:81], v[76:77]
	v_mul_f64_e32 v[86:87], s[34:35], v[124:125]
	v_fma_f64 v[84:85], v[138:139], s[2:3], v[82:83]
	v_fma_f64 v[80:81], v[138:139], s[2:3], -v[82:83]
	v_add_f64_e32 v[74:75], v[84:85], v[74:75]
	v_mul_f64_e32 v[84:85], s[40:41], v[142:143]
	s_delay_alu instid0(VALU_DEP_3) | instskip(NEXT) | instid1(VALU_DEP_2)
	v_add_f64_e32 v[78:79], v[80:81], v[78:79]
	v_fma_f64 v[92:93], v[144:145], s[16:17], -v[84:85]
	v_fma_f64 v[80:81], v[144:145], s[16:17], v[84:85]
	v_mul_f64_e32 v[84:85], s[34:35], v[118:119]
	v_mul_f64_e32 v[118:119], s[30:31], v[175:176]
	s_delay_alu instid0(VALU_DEP_4) | instskip(SKIP_2) | instid1(VALU_DEP_2)
	v_add_f64_e32 v[72:73], v[92:93], v[72:73]
	v_mul_f64_e32 v[92:93], s[40:41], v[148:149]
	v_add_f64_e32 v[76:77], v[80:81], v[76:77]
	v_fma_f64 v[94:95], v[150:151], s[16:17], v[92:93]
	v_fma_f64 v[80:81], v[150:151], s[16:17], -v[92:93]
	v_mul_f64_e32 v[92:93], s[22:23], v[130:131]
	s_delay_alu instid0(VALU_DEP_3) | instskip(SKIP_1) | instid1(VALU_DEP_4)
	v_add_f64_e32 v[74:75], v[94:95], v[74:75]
	v_mul_f64_e32 v[94:95], s[34:35], v[154:155]
	v_add_f64_e32 v[78:79], v[80:81], v[78:79]
	s_delay_alu instid0(VALU_DEP_2) | instskip(SKIP_3) | instid1(VALU_DEP_4)
	v_fma_f64 v[96:97], v[159:160], s[10:11], -v[94:95]
	v_fma_f64 v[80:81], v[159:160], s[10:11], v[94:95]
	v_fma_f64 v[94:95], v[132:133], s[14:15], -v[92:93]
	v_fma_f64 v[92:93], v[132:133], s[14:15], v[92:93]
	v_add_f64_e32 v[72:73], v[96:97], v[72:73]
	v_mul_f64_e32 v[96:97], s[34:35], v[163:164]
	v_add_f64_e32 v[76:77], v[80:81], v[76:77]
	s_delay_alu instid0(VALU_DEP_2) | instskip(SKIP_1) | instid1(VALU_DEP_2)
	v_fma_f64 v[98:99], v[165:166], s[10:11], v[96:97]
	v_fma_f64 v[80:81], v[165:166], s[10:11], -v[96:97]
	v_add_f64_e32 v[74:75], v[98:99], v[74:75]
	v_mul_f64_e32 v[98:99], s[18:19], v[169:170]
	s_delay_alu instid0(VALU_DEP_3) | instskip(NEXT) | instid1(VALU_DEP_2)
	v_add_f64_e32 v[78:79], v[80:81], v[78:79]
	v_fma_f64 v[181:182], v[171:172], s[12:13], -v[98:99]
	v_fma_f64 v[80:81], v[171:172], s[12:13], v[98:99]
	s_delay_alu instid0(VALU_DEP_2) | instskip(SKIP_1) | instid1(VALU_DEP_3)
	v_add_f64_e32 v[72:73], v[181:182], v[72:73]
	v_mul_f64_e32 v[181:182], s[18:19], v[175:176]
	v_add_f64_e32 v[76:77], v[80:81], v[76:77]
	v_fma_f64 v[80:81], v[120:121], s[10:11], -v[84:85]
	v_fma_f64 v[84:85], v[120:121], s[10:11], v[84:85]
	s_delay_alu instid0(VALU_DEP_4) | instskip(SKIP_1) | instid1(VALU_DEP_4)
	v_fma_f64 v[82:83], v[177:178], s[12:13], -v[181:182]
	v_fma_f64 v[183:184], v[177:178], s[12:13], v[181:182]
	v_add_f64_e32 v[80:81], v[80:81], v[108:109]
	s_delay_alu instid0(VALU_DEP_4) | instskip(NEXT) | instid1(VALU_DEP_4)
	v_add_f64_e32 v[84:85], v[84:85], v[110:111]
	v_add_f64_e32 v[78:79], v[82:83], v[78:79]
	v_fma_f64 v[82:83], v[126:127], s[10:11], v[86:87]
	s_delay_alu instid0(VALU_DEP_4)
	v_add_f64_e32 v[80:81], v[94:95], v[80:81]
	v_mul_f64_e32 v[94:95], s[22:23], v[136:137]
	v_fma_f64 v[86:87], v[126:127], s[10:11], -v[86:87]
	v_add_f64_e32 v[84:85], v[92:93], v[84:85]
	v_add_f64_e32 v[74:75], v[183:184], v[74:75]
	v_add_f64_e32 v[82:83], v[82:83], v[100:101]
	v_fma_f64 v[96:97], v[138:139], s[14:15], v[94:95]
	v_add_f64_e32 v[86:87], v[86:87], v[116:117]
	v_fma_f64 v[92:93], v[138:139], s[14:15], -v[94:95]
	v_fma_f64 v[94:95], v[177:178], s[6:7], -v[118:119]
	s_delay_alu instid0(VALU_DEP_4) | instskip(SKIP_1) | instid1(VALU_DEP_4)
	v_add_f64_e32 v[82:83], v[96:97], v[82:83]
	v_mul_f64_e32 v[96:97], s[38:39], v[142:143]
	v_add_f64_e32 v[86:87], v[92:93], v[86:87]
	s_delay_alu instid0(VALU_DEP_2) | instskip(SKIP_1) | instid1(VALU_DEP_2)
	v_fma_f64 v[98:99], v[144:145], s[2:3], -v[96:97]
	v_fma_f64 v[92:93], v[144:145], s[2:3], v[96:97]
	v_add_f64_e32 v[80:81], v[98:99], v[80:81]
	v_mul_f64_e32 v[98:99], s[38:39], v[148:149]
	s_delay_alu instid0(VALU_DEP_3) | instskip(NEXT) | instid1(VALU_DEP_2)
	v_add_f64_e32 v[84:85], v[92:93], v[84:85]
	v_fma_f64 v[100:101], v[150:151], s[2:3], v[98:99]
	v_fma_f64 v[92:93], v[150:151], s[2:3], -v[98:99]
	s_delay_alu instid0(VALU_DEP_2) | instskip(SKIP_1) | instid1(VALU_DEP_3)
	v_add_f64_e32 v[82:83], v[100:101], v[82:83]
	v_mul_f64_e32 v[100:101], s[18:19], v[154:155]
	v_add_f64_e32 v[86:87], v[92:93], v[86:87]
	s_delay_alu instid0(VALU_DEP_2) | instskip(SKIP_3) | instid1(VALU_DEP_3)
	v_fma_f64 v[106:107], v[159:160], s[12:13], -v[100:101]
	v_fma_f64 v[92:93], v[159:160], s[12:13], v[100:101]
	s_wait_alu 0xf1ff
	v_cndmask_b32_e64 v159, v158, v112, s0
	v_add_f64_e32 v[80:81], v[106:107], v[80:81]
	v_mul_f64_e32 v[106:107], s[18:19], v[163:164]
	s_delay_alu instid0(VALU_DEP_4) | instskip(NEXT) | instid1(VALU_DEP_2)
	v_add_f64_e32 v[84:85], v[92:93], v[84:85]
	v_fma_f64 v[108:109], v[165:166], s[12:13], v[106:107]
	v_fma_f64 v[92:93], v[165:166], s[12:13], -v[106:107]
	s_delay_alu instid0(VALU_DEP_2) | instskip(SKIP_1) | instid1(VALU_DEP_3)
	v_add_f64_e32 v[82:83], v[108:109], v[82:83]
	v_mul_f64_e32 v[108:109], s[30:31], v[169:170]
	v_add_f64_e32 v[86:87], v[92:93], v[86:87]
	s_delay_alu instid0(VALU_DEP_2) | instskip(SKIP_1) | instid1(VALU_DEP_3)
	v_fma_f64 v[124:125], v[171:172], s[6:7], -v[108:109]
	v_fma_f64 v[92:93], v[171:172], s[6:7], v[108:109]
	v_add_f64_e32 v[86:87], v[94:95], v[86:87]
	s_delay_alu instid0(VALU_DEP_3) | instskip(SKIP_1) | instid1(VALU_DEP_4)
	v_add_f64_e32 v[80:81], v[124:125], v[80:81]
	v_fma_f64 v[124:125], v[177:178], s[6:7], v[118:119]
	v_add_f64_e32 v[84:85], v[92:93], v[84:85]
	s_delay_alu instid0(VALU_DEP_2)
	v_add_f64_e32 v[82:83], v[124:125], v[82:83]
	ds_store_b128 v32, v[24:27]
	ds_store_b128 v32, v[0:3] offset:32
	ds_store_b128 v32, v[4:7] offset:64
	;; [unrolled: 1-line block ×9, first 2 shown]
	v_mov_b32_e32 v1, 0
	v_mul_i32_i24_e32 v0, 12, v159
	ds_store_b128 v32, v[16:19] offset:320
	ds_store_b128 v32, v[8:11] offset:352
	;; [unrolled: 1-line block ×3, first 2 shown]
	global_wb scope:SCOPE_SE
	s_wait_dscnt 0x0
	s_barrier_signal -1
	v_lshlrev_b64_e32 v[0:1], 4, v[0:1]
	s_barrier_wait -1
	global_inv scope:SCOPE_SE
	v_add_co_u32 v68, s1, s4, v0
	s_wait_alu 0xf1ff
	v_add_co_ci_u32_e64 v69, s1, s5, v1, s1
	s_clause 0x1
	global_load_b128 v[0:3], v[68:69], off offset:384
	global_load_b128 v[4:7], v[68:69], off offset:400
	ds_load_b128 v[8:11], v156 offset:1664
	ds_load_b128 v[12:15], v156 offset:2496
	v_cmp_lt_u32_e64 s1, 25, v112
	s_wait_loadcnt_dscnt 0x101
	v_mul_f64_e32 v[16:17], v[10:11], v[2:3]
	v_mul_f64_e32 v[2:3], v[8:9], v[2:3]
	s_delay_alu instid0(VALU_DEP_2) | instskip(NEXT) | instid1(VALU_DEP_2)
	v_fma_f64 v[100:101], v[8:9], v[0:1], -v[16:17]
	v_fma_f64 v[102:103], v[10:11], v[0:1], v[2:3]
	ds_load_b128 v[0:3], v156 offset:3328
	ds_load_b128 v[16:19], v156 offset:4160
	s_wait_loadcnt_dscnt 0x1
	v_mul_f64_e32 v[8:9], v[2:3], v[6:7]
	s_delay_alu instid0(VALU_DEP_1) | instskip(SKIP_1) | instid1(VALU_DEP_1)
	v_fma_f64 v[52:53], v[0:1], v[4:5], -v[8:9]
	v_mul_f64_e32 v[0:1], v[0:1], v[6:7]
	v_fma_f64 v[54:55], v[2:3], v[4:5], v[0:1]
	s_clause 0x1
	global_load_b128 v[0:3], v[68:69], off offset:416
	global_load_b128 v[4:7], v[68:69], off offset:432
	ds_load_b128 v[8:11], v156 offset:4992
	ds_load_b128 v[20:23], v156 offset:5824
	s_wait_loadcnt_dscnt 0x101
	v_mul_f64_e32 v[24:25], v[10:11], v[2:3]
	v_mul_f64_e32 v[2:3], v[8:9], v[2:3]
	s_delay_alu instid0(VALU_DEP_2) | instskip(NEXT) | instid1(VALU_DEP_2)
	v_fma_f64 v[56:57], v[8:9], v[0:1], -v[24:25]
	v_fma_f64 v[58:59], v[10:11], v[0:1], v[2:3]
	ds_load_b128 v[0:3], v156 offset:6656
	ds_load_b128 v[24:27], v156 offset:7488
	s_wait_loadcnt_dscnt 0x1
	v_mul_f64_e32 v[8:9], v[2:3], v[6:7]
	s_delay_alu instid0(VALU_DEP_1) | instskip(SKIP_1) | instid1(VALU_DEP_1)
	v_fma_f64 v[60:61], v[0:1], v[4:5], -v[8:9]
	v_mul_f64_e32 v[0:1], v[0:1], v[6:7]
	v_fma_f64 v[62:63], v[2:3], v[4:5], v[0:1]
	s_clause 0x1
	global_load_b128 v[0:3], v[68:69], off offset:448
	global_load_b128 v[4:7], v[68:69], off offset:464
	ds_load_b128 v[8:11], v156 offset:8320
	ds_load_b128 v[28:31], v156 offset:9152
	;; [unrolled: 19-line block ×3, first 2 shown]
	s_wait_loadcnt_dscnt 0x101
	v_mul_f64_e32 v[40:41], v[10:11], v[2:3]
	v_mul_f64_e32 v[2:3], v[8:9], v[2:3]
	s_delay_alu instid0(VALU_DEP_2) | instskip(NEXT) | instid1(VALU_DEP_2)
	v_fma_f64 v[76:77], v[8:9], v[0:1], -v[40:41]
	v_fma_f64 v[78:79], v[10:11], v[0:1], v[2:3]
	ds_load_b128 v[0:3], v156 offset:13312
	ds_load_b128 v[40:43], v156 offset:14144
	s_wait_loadcnt_dscnt 0x1
	v_mul_f64_e32 v[8:9], v[2:3], v[6:7]
	v_add_f64_e32 v[211:212], v[72:73], v[76:77]
	v_add_f64_e64 v[209:210], v[74:75], -v[78:79]
	v_add_f64_e64 v[213:214], v[72:73], -v[76:77]
	v_add_f64_e32 v[215:216], v[74:75], v[78:79]
	v_fma_f64 v[80:81], v[0:1], v[4:5], -v[8:9]
	v_mul_f64_e32 v[0:1], v[0:1], v[6:7]
	s_delay_alu instid0(VALU_DEP_2) | instskip(NEXT) | instid1(VALU_DEP_2)
	v_add_f64_e32 v[203:204], v[64:65], v[80:81]
	v_fma_f64 v[82:83], v[2:3], v[4:5], v[0:1]
	s_clause 0x1
	global_load_b128 v[0:3], v[68:69], off offset:512
	global_load_b128 v[4:7], v[68:69], off offset:528
	ds_load_b128 v[8:11], v156 offset:14976
	ds_load_b128 v[44:47], v156 offset:15808
	v_add_f64_e64 v[205:206], v[64:65], -v[80:81]
	v_add_f64_e64 v[201:202], v[66:67], -v[82:83]
	v_add_f64_e32 v[207:208], v[66:67], v[82:83]
	s_wait_loadcnt_dscnt 0x101
	v_mul_f64_e32 v[48:49], v[10:11], v[2:3]
	v_mul_f64_e32 v[2:3], v[8:9], v[2:3]
	s_delay_alu instid0(VALU_DEP_2) | instskip(NEXT) | instid1(VALU_DEP_2)
	v_fma_f64 v[84:85], v[8:9], v[0:1], -v[48:49]
	v_fma_f64 v[86:87], v[10:11], v[0:1], v[2:3]
	ds_load_b128 v[0:3], v156 offset:16640
	ds_load_b128 v[48:51], v156 offset:17472
	s_wait_loadcnt_dscnt 0x1
	v_mul_f64_e32 v[8:9], v[2:3], v[6:7]
	v_add_f64_e32 v[195:196], v[60:61], v[84:85]
	v_add_f64_e64 v[193:194], v[62:63], -v[86:87]
	v_add_f64_e64 v[197:198], v[60:61], -v[84:85]
	v_add_f64_e32 v[199:200], v[62:63], v[86:87]
	v_fma_f64 v[88:89], v[0:1], v[4:5], -v[8:9]
	v_mul_f64_e32 v[0:1], v[0:1], v[6:7]
	s_delay_alu instid0(VALU_DEP_2) | instskip(NEXT) | instid1(VALU_DEP_2)
	v_add_f64_e32 v[187:188], v[56:57], v[88:89]
	v_fma_f64 v[90:91], v[2:3], v[4:5], v[0:1]
	s_clause 0x1
	global_load_b128 v[0:3], v[68:69], off offset:544
	global_load_b128 v[4:7], v[68:69], off offset:560
	ds_load_b128 v[8:11], v156 offset:18304
	ds_load_b128 v[104:107], v156 offset:19136
	v_add_f64_e64 v[189:190], v[56:57], -v[88:89]
	v_add_f64_e64 v[185:186], v[58:59], -v[90:91]
	v_add_f64_e32 v[191:192], v[58:59], v[90:91]
	s_wait_loadcnt_dscnt 0x101
	v_mul_f64_e32 v[68:69], v[10:11], v[2:3]
	v_mul_f64_e32 v[2:3], v[8:9], v[2:3]
	s_delay_alu instid0(VALU_DEP_2) | instskip(NEXT) | instid1(VALU_DEP_2)
	v_fma_f64 v[92:93], v[8:9], v[0:1], -v[68:69]
	v_fma_f64 v[94:95], v[10:11], v[0:1], v[2:3]
	ds_load_b128 v[0:3], v156 offset:19968
	ds_load_b128 v[108:111], v156 offset:20800
	s_wait_loadcnt_dscnt 0x1
	v_mul_f64_e32 v[8:9], v[2:3], v[6:7]
	v_add_f64_e32 v[179:180], v[52:53], v[92:93]
	v_add_f64_e64 v[177:178], v[54:55], -v[94:95]
	v_add_f64_e64 v[181:182], v[52:53], -v[92:93]
	v_add_f64_e32 v[183:184], v[54:55], v[94:95]
	v_fma_f64 v[96:97], v[0:1], v[4:5], -v[8:9]
	v_mul_f64_e32 v[0:1], v[0:1], v[6:7]
	s_delay_alu instid0(VALU_DEP_1) | instskip(SKIP_1) | instid1(VALU_DEP_1)
	v_fma_f64 v[98:99], v[2:3], v[4:5], v[0:1]
	v_and_b32_e32 v0, 0xff, v157
	v_mul_lo_u16 v0, 0x4f, v0
	s_delay_alu instid0(VALU_DEP_1) | instskip(NEXT) | instid1(VALU_DEP_1)
	v_lshrrev_b16 v160, 11, v0
	v_mul_lo_u16 v0, v160, 26
	s_delay_alu instid0(VALU_DEP_1) | instskip(NEXT) | instid1(VALU_DEP_1)
	v_sub_nc_u16 v0, v157, v0
	v_and_b32_e32 v157, 0xff, v0
	s_delay_alu instid0(VALU_DEP_1) | instskip(NEXT) | instid1(VALU_DEP_1)
	v_mul_u32_u24_e32 v0, 12, v157
	v_lshlrev_b32_e32 v116, 4, v0
	s_clause 0x1
	global_load_b128 v[0:3], v116, s[4:5] offset:384
	global_load_b128 v[4:7], v116, s[4:5] offset:400
	v_add_f64_e32 v[161:162], v[102:103], v[98:99]
	s_wait_loadcnt 0x1
	v_mul_f64_e32 v[8:9], v[14:15], v[2:3]
	v_mul_f64_e32 v[2:3], v[12:13], v[2:3]
	s_delay_alu instid0(VALU_DEP_2) | instskip(NEXT) | instid1(VALU_DEP_2)
	v_fma_f64 v[68:69], v[12:13], v[0:1], -v[8:9]
	v_fma_f64 v[70:71], v[14:15], v[0:1], v[2:3]
	s_wait_loadcnt 0x0
	v_mul_f64_e32 v[0:1], v[18:19], v[6:7]
	s_delay_alu instid0(VALU_DEP_1) | instskip(SKIP_1) | instid1(VALU_DEP_1)
	v_fma_f64 v[8:9], v[16:17], v[4:5], -v[0:1]
	v_mul_f64_e32 v[0:1], v[16:17], v[6:7]
	v_fma_f64 v[10:11], v[18:19], v[4:5], v[0:1]
	s_clause 0x1
	global_load_b128 v[0:3], v116, s[4:5] offset:416
	global_load_b128 v[4:7], v116, s[4:5] offset:432
	s_wait_loadcnt 0x1
	v_mul_f64_e32 v[12:13], v[22:23], v[2:3]
	v_mul_f64_e32 v[2:3], v[20:21], v[2:3]
	s_delay_alu instid0(VALU_DEP_2) | instskip(NEXT) | instid1(VALU_DEP_2)
	v_fma_f64 v[12:13], v[20:21], v[0:1], -v[12:13]
	v_fma_f64 v[14:15], v[22:23], v[0:1], v[2:3]
	s_wait_loadcnt 0x0
	v_mul_f64_e32 v[0:1], v[26:27], v[6:7]
	s_delay_alu instid0(VALU_DEP_1) | instskip(SKIP_1) | instid1(VALU_DEP_1)
	v_fma_f64 v[16:17], v[24:25], v[4:5], -v[0:1]
	v_mul_f64_e32 v[0:1], v[24:25], v[6:7]
	v_fma_f64 v[18:19], v[26:27], v[4:5], v[0:1]
	s_clause 0x1
	global_load_b128 v[0:3], v116, s[4:5] offset:448
	global_load_b128 v[4:7], v116, s[4:5] offset:464
	;; [unrolled: 15-line block ×5, first 2 shown]
	v_add_f64_e32 v[116:117], v[100:101], v[96:97]
	s_wait_loadcnt 0x1
	v_mul_f64_e32 v[44:45], v[106:107], v[2:3]
	v_mul_f64_e32 v[2:3], v[104:105], v[2:3]
	s_delay_alu instid0(VALU_DEP_2) | instskip(NEXT) | instid1(VALU_DEP_2)
	v_fma_f64 v[44:45], v[104:105], v[0:1], -v[44:45]
	v_fma_f64 v[46:47], v[106:107], v[0:1], v[2:3]
	s_wait_loadcnt_dscnt 0x0
	v_mul_f64_e32 v[0:1], v[110:111], v[6:7]
	s_delay_alu instid0(VALU_DEP_1) | instskip(SKIP_1) | instid1(VALU_DEP_1)
	v_fma_f64 v[48:49], v[108:109], v[4:5], -v[0:1]
	v_mul_f64_e32 v[0:1], v[108:109], v[6:7]
	v_fma_f64 v[50:51], v[110:111], v[4:5], v[0:1]
	v_add_f64_e64 v[0:1], v[102:103], -v[98:99]
	s_delay_alu instid0(VALU_DEP_1)
	v_mul_f64_e32 v[2:3], s[28:29], v[0:1]
	v_mul_f64_e32 v[4:5], s[20:21], v[0:1]
	;; [unrolled: 1-line block ×6, first 2 shown]
	v_fma_f64 v[130:131], v[116:117], s[10:11], -v[2:3]
	v_fma_f64 v[128:129], v[116:117], s[10:11], v[2:3]
	v_fma_f64 v[126:127], v[116:117], s[2:3], -v[4:5]
	v_fma_f64 v[124:125], v[116:117], s[2:3], v[4:5]
	;; [unrolled: 2-line block ×6, first 2 shown]
	v_add_f64_e64 v[0:1], v[100:101], -v[96:97]
	s_delay_alu instid0(VALU_DEP_1)
	v_mul_f64_e32 v[2:3], s[28:29], v[0:1]
	v_mul_f64_e32 v[4:5], s[20:21], v[0:1]
	;; [unrolled: 1-line block ×6, first 2 shown]
	v_fma_f64 v[154:155], v[161:162], s[10:11], v[2:3]
	v_fma_f64 v[152:153], v[161:162], s[10:11], -v[2:3]
	v_fma_f64 v[150:151], v[161:162], s[2:3], v[4:5]
	v_fma_f64 v[148:149], v[161:162], s[2:3], -v[4:5]
	;; [unrolled: 2-line block ×6, first 2 shown]
	ds_load_b128 v[0:3], v156
	ds_load_b128 v[4:7], v156 offset:832
	global_wb scope:SCOPE_SE
	s_wait_dscnt 0x0
	s_barrier_signal -1
	s_barrier_wait -1
	global_inv scope:SCOPE_SE
	v_add_f64_e32 v[169:170], v[0:1], v[104:105]
	v_mul_f64_e32 v[104:105], s[20:21], v[177:178]
	v_add_f64_e32 v[161:162], v[0:1], v[100:101]
	v_add_f64_e32 v[163:164], v[2:3], v[102:103]
	;; [unrolled: 1-line block ×25, first 2 shown]
	v_fma_f64 v[0:1], v[179:180], s[2:3], -v[104:105]
	v_fma_f64 v[104:105], v[179:180], s[2:3], v[104:105]
	v_add_f64_e32 v[52:53], v[161:162], v[52:53]
	v_add_f64_e32 v[54:55], v[163:164], v[54:55]
	v_add_f64_e64 v[163:164], v[20:21], -v[32:33]
	v_add_f64_e32 v[0:1], v[0:1], v[100:101]
	v_mul_f64_e32 v[100:101], s[20:21], v[181:182]
	v_add_f64_e32 v[104:105], v[104:105], v[128:129]
	v_add_f64_e32 v[52:53], v[52:53], v[56:57]
	;; [unrolled: 1-line block ×3, first 2 shown]
	v_lshlrev_b32_e32 v56, 4, v159
	s_wait_alu 0xf1ff
	v_cndmask_b32_e64 v57, 0, 0x1520, s1
	s_delay_alu instid0(VALU_DEP_1)
	v_add3_u32 v56, 0, v57, v56
	v_fma_f64 v[2:3], v[183:184], s[2:3], v[100:101]
	v_fma_f64 v[100:101], v[183:184], s[2:3], -v[100:101]
	v_add_f64_e32 v[52:53], v[52:53], v[60:61]
	v_add_f64_e32 v[54:55], v[54:55], v[62:63]
	v_add_f64_e32 v[60:61], v[68:69], v[48:49]
	v_add_f64_e32 v[2:3], v[2:3], v[102:103]
	v_mul_f64_e32 v[102:103], s[24:25], v[185:186]
	v_add_f64_e32 v[100:101], v[100:101], v[130:131]
	v_add_f64_e32 v[52:53], v[52:53], v[64:65]
	;; [unrolled: 1-line block ×3, first 2 shown]
	s_delay_alu instid0(VALU_DEP_4) | instskip(SKIP_1) | instid1(VALU_DEP_4)
	v_fma_f64 v[106:107], v[187:188], s[6:7], -v[102:103]
	v_fma_f64 v[102:103], v[187:188], s[6:7], v[102:103]
	v_add_f64_e32 v[52:53], v[52:53], v[72:73]
	s_delay_alu instid0(VALU_DEP_4) | instskip(NEXT) | instid1(VALU_DEP_4)
	v_add_f64_e32 v[54:55], v[54:55], v[74:75]
	v_add_f64_e32 v[0:1], v[106:107], v[0:1]
	v_mul_f64_e32 v[106:107], s[24:25], v[189:190]
	v_add_f64_e32 v[102:103], v[102:103], v[104:105]
	v_add_f64_e32 v[52:53], v[52:53], v[76:77]
	;; [unrolled: 1-line block ×3, first 2 shown]
	s_delay_alu instid0(VALU_DEP_4) | instskip(SKIP_1) | instid1(VALU_DEP_4)
	v_fma_f64 v[108:109], v[191:192], s[6:7], v[106:107]
	v_fma_f64 v[104:105], v[191:192], s[6:7], -v[106:107]
	v_add_f64_e32 v[52:53], v[52:53], v[80:81]
	s_delay_alu instid0(VALU_DEP_4) | instskip(NEXT) | instid1(VALU_DEP_4)
	v_add_f64_e32 v[54:55], v[54:55], v[82:83]
	v_add_f64_e32 v[2:3], v[108:109], v[2:3]
	v_mul_f64_e32 v[108:109], s[18:19], v[193:194]
	v_add_f64_e32 v[100:101], v[104:105], v[100:101]
	v_add_f64_e32 v[52:53], v[52:53], v[84:85]
	;; [unrolled: 1-line block ×3, first 2 shown]
	s_delay_alu instid0(VALU_DEP_4)
	v_fma_f64 v[110:111], v[195:196], s[12:13], -v[108:109]
	v_fma_f64 v[104:105], v[195:196], s[12:13], v[108:109]
	v_mul_f64_e32 v[108:109], s[18:19], v[177:178]
	v_add_f64_e32 v[52:53], v[52:53], v[88:89]
	v_add_f64_e32 v[54:55], v[54:55], v[90:91]
	;; [unrolled: 1-line block ×4, first 2 shown]
	v_mul_f64_e32 v[110:111], s[18:19], v[197:198]
	v_add_f64_e32 v[102:103], v[104:105], v[102:103]
	v_add_f64_e32 v[52:53], v[52:53], v[92:93]
	;; [unrolled: 1-line block ×3, first 2 shown]
	s_delay_alu instid0(VALU_DEP_4)
	v_fma_f64 v[116:117], v[199:200], s[12:13], v[110:111]
	v_fma_f64 v[104:105], v[199:200], s[12:13], -v[110:111]
	v_mul_f64_e32 v[110:111], s[18:19], v[181:182]
	v_add_f64_e32 v[52:53], v[52:53], v[96:97]
	v_add_f64_e32 v[54:55], v[54:55], v[98:99]
	;; [unrolled: 1-line block ×3, first 2 shown]
	v_mul_f64_e32 v[116:117], s[22:23], v[201:202]
	v_add_f64_e32 v[100:101], v[104:105], v[100:101]
	s_delay_alu instid0(VALU_DEP_2) | instskip(SKIP_2) | instid1(VALU_DEP_3)
	v_fma_f64 v[118:119], v[203:204], s[14:15], -v[116:117]
	v_fma_f64 v[104:105], v[203:204], s[14:15], v[116:117]
	v_mul_f64_e32 v[116:117], s[26:27], v[185:186]
	v_add_f64_e32 v[0:1], v[118:119], v[0:1]
	v_mul_f64_e32 v[118:119], s[22:23], v[205:206]
	s_delay_alu instid0(VALU_DEP_4) | instskip(NEXT) | instid1(VALU_DEP_2)
	v_add_f64_e32 v[102:103], v[104:105], v[102:103]
	v_fma_f64 v[132:133], v[207:208], s[14:15], v[118:119]
	v_fma_f64 v[104:105], v[207:208], s[14:15], -v[118:119]
	v_fma_f64 v[118:119], v[187:188], s[16:17], -v[116:117]
	v_fma_f64 v[116:117], v[187:188], s[16:17], v[116:117]
	s_delay_alu instid0(VALU_DEP_4) | instskip(SKIP_2) | instid1(VALU_DEP_2)
	v_add_f64_e32 v[2:3], v[132:133], v[2:3]
	v_mul_f64_e32 v[132:133], s[26:27], v[209:210]
	v_add_f64_e32 v[104:105], v[104:105], v[100:101]
	v_fma_f64 v[134:135], v[211:212], s[16:17], -v[132:133]
	v_fma_f64 v[100:101], v[211:212], s[16:17], v[132:133]
	s_delay_alu instid0(VALU_DEP_2) | instskip(SKIP_1) | instid1(VALU_DEP_3)
	v_add_f64_e32 v[0:1], v[134:135], v[0:1]
	v_mul_f64_e32 v[134:135], s[26:27], v[213:214]
	v_add_f64_e32 v[100:101], v[100:101], v[102:103]
	s_delay_alu instid0(VALU_DEP_2) | instskip(SKIP_1) | instid1(VALU_DEP_2)
	v_fma_f64 v[106:107], v[215:216], s[16:17], -v[134:135]
	v_fma_f64 v[217:218], v[215:216], s[16:17], v[134:135]
	v_add_f64_e32 v[102:103], v[106:107], v[104:105]
	v_fma_f64 v[104:105], v[179:180], s[12:13], -v[108:109]
	v_fma_f64 v[106:107], v[183:184], s[12:13], v[110:111]
	v_fma_f64 v[108:109], v[179:180], s[12:13], v[108:109]
	v_fma_f64 v[110:111], v[183:184], s[12:13], -v[110:111]
	v_add_f64_e32 v[2:3], v[217:218], v[2:3]
	v_add_f64_e32 v[104:105], v[104:105], v[126:127]
	;; [unrolled: 1-line block ×5, first 2 shown]
	v_mul_f64_e32 v[124:125], s[26:27], v[177:178]
	v_add_f64_e32 v[104:105], v[118:119], v[104:105]
	v_mul_f64_e32 v[118:119], s[26:27], v[189:190]
	v_add_f64_e32 v[108:109], v[116:117], v[108:109]
	s_delay_alu instid0(VALU_DEP_2) | instskip(SKIP_1) | instid1(VALU_DEP_2)
	v_fma_f64 v[126:127], v[191:192], s[16:17], v[118:119]
	v_fma_f64 v[116:117], v[191:192], s[16:17], -v[118:119]
	v_add_f64_e32 v[106:107], v[126:127], v[106:107]
	v_mul_f64_e32 v[126:127], s[36:37], v[193:194]
	s_delay_alu instid0(VALU_DEP_3) | instskip(NEXT) | instid1(VALU_DEP_2)
	v_add_f64_e32 v[110:111], v[116:117], v[110:111]
	v_fma_f64 v[128:129], v[195:196], s[14:15], -v[126:127]
	v_fma_f64 v[116:117], v[195:196], s[14:15], v[126:127]
	v_mul_f64_e32 v[126:127], s[42:43], v[185:186]
	s_delay_alu instid0(VALU_DEP_3) | instskip(SKIP_1) | instid1(VALU_DEP_4)
	v_add_f64_e32 v[104:105], v[128:129], v[104:105]
	v_mul_f64_e32 v[128:129], s[36:37], v[197:198]
	v_add_f64_e32 v[108:109], v[116:117], v[108:109]
	s_delay_alu instid0(VALU_DEP_2) | instskip(SKIP_2) | instid1(VALU_DEP_3)
	v_fma_f64 v[130:131], v[199:200], s[14:15], v[128:129]
	v_fma_f64 v[116:117], v[199:200], s[14:15], -v[128:129]
	v_fma_f64 v[128:129], v[187:188], s[12:13], -v[126:127]
	v_add_f64_e32 v[106:107], v[130:131], v[106:107]
	v_mul_f64_e32 v[130:131], s[30:31], v[201:202]
	s_delay_alu instid0(VALU_DEP_4) | instskip(NEXT) | instid1(VALU_DEP_2)
	v_add_f64_e32 v[110:111], v[116:117], v[110:111]
	v_fma_f64 v[132:133], v[203:204], s[6:7], -v[130:131]
	v_fma_f64 v[116:117], v[203:204], s[6:7], v[130:131]
	s_delay_alu instid0(VALU_DEP_2) | instskip(SKIP_1) | instid1(VALU_DEP_3)
	v_add_f64_e32 v[104:105], v[132:133], v[104:105]
	v_mul_f64_e32 v[132:133], s[30:31], v[205:206]
	v_add_f64_e32 v[108:109], v[116:117], v[108:109]
	s_delay_alu instid0(VALU_DEP_2) | instskip(SKIP_1) | instid1(VALU_DEP_2)
	v_fma_f64 v[134:135], v[207:208], s[6:7], v[132:133]
	v_fma_f64 v[116:117], v[207:208], s[6:7], -v[132:133]
	v_add_f64_e32 v[106:107], v[134:135], v[106:107]
	v_mul_f64_e32 v[134:135], s[34:35], v[209:210]
	s_delay_alu instid0(VALU_DEP_3) | instskip(NEXT) | instid1(VALU_DEP_2)
	v_add_f64_e32 v[110:111], v[116:117], v[110:111]
	v_fma_f64 v[150:151], v[211:212], s[10:11], -v[134:135]
	v_fma_f64 v[116:117], v[211:212], s[10:11], v[134:135]
	s_delay_alu instid0(VALU_DEP_2) | instskip(SKIP_1) | instid1(VALU_DEP_3)
	v_add_f64_e32 v[104:105], v[150:151], v[104:105]
	v_mul_f64_e32 v[150:151], s[34:35], v[213:214]
	v_add_f64_e32 v[108:109], v[116:117], v[108:109]
	v_fma_f64 v[116:117], v[179:180], s[16:17], -v[124:125]
	v_fma_f64 v[124:125], v[179:180], s[16:17], v[124:125]
	s_delay_alu instid0(VALU_DEP_4) | instskip(SKIP_1) | instid1(VALU_DEP_4)
	v_fma_f64 v[118:119], v[215:216], s[10:11], -v[150:151]
	v_fma_f64 v[217:218], v[215:216], s[10:11], v[150:151]
	v_add_f64_e32 v[116:117], v[116:117], v[122:123]
	v_mul_f64_e32 v[122:123], s[26:27], v[181:182]
	v_add_f64_e32 v[120:121], v[124:125], v[120:121]
	v_fma_f64 v[124:125], v[187:188], s[12:13], v[126:127]
	v_add_f64_e32 v[110:111], v[118:119], v[110:111]
	v_add_f64_e32 v[106:107], v[217:218], v[106:107]
	;; [unrolled: 1-line block ×3, first 2 shown]
	v_fma_f64 v[118:119], v[183:184], s[16:17], v[122:123]
	v_mul_f64_e32 v[128:129], s[42:43], v[189:190]
	v_fma_f64 v[122:123], v[183:184], s[16:17], -v[122:123]
	v_add_f64_e32 v[120:121], v[124:125], v[120:121]
	s_delay_alu instid0(VALU_DEP_4) | instskip(NEXT) | instid1(VALU_DEP_4)
	v_add_f64_e32 v[118:119], v[118:119], v[146:147]
	v_fma_f64 v[130:131], v[191:192], s[12:13], v[128:129]
	s_delay_alu instid0(VALU_DEP_4) | instskip(SKIP_2) | instid1(VALU_DEP_4)
	v_add_f64_e32 v[122:123], v[122:123], v[144:145]
	v_fma_f64 v[124:125], v[191:192], s[12:13], -v[128:129]
	v_mul_f64_e32 v[128:129], s[36:37], v[177:178]
	v_add_f64_e32 v[118:119], v[130:131], v[118:119]
	v_mul_f64_e32 v[130:131], s[34:35], v[193:194]
	s_delay_alu instid0(VALU_DEP_4) | instskip(NEXT) | instid1(VALU_DEP_2)
	v_add_f64_e32 v[122:123], v[124:125], v[122:123]
	v_fma_f64 v[132:133], v[195:196], s[10:11], -v[130:131]
	v_fma_f64 v[124:125], v[195:196], s[10:11], v[130:131]
	v_mul_f64_e32 v[130:131], s[36:37], v[181:182]
	s_delay_alu instid0(VALU_DEP_3) | instskip(SKIP_1) | instid1(VALU_DEP_4)
	v_add_f64_e32 v[116:117], v[132:133], v[116:117]
	v_mul_f64_e32 v[132:133], s[34:35], v[197:198]
	v_add_f64_e32 v[120:121], v[124:125], v[120:121]
	s_delay_alu instid0(VALU_DEP_2) | instskip(SKIP_2) | instid1(VALU_DEP_3)
	v_fma_f64 v[134:135], v[199:200], s[10:11], v[132:133]
	v_fma_f64 v[124:125], v[199:200], s[10:11], -v[132:133]
	v_mul_f64_e32 v[132:133], s[34:35], v[185:186]
	v_add_f64_e32 v[118:119], v[134:135], v[118:119]
	v_mul_f64_e32 v[134:135], s[20:21], v[201:202]
	s_delay_alu instid0(VALU_DEP_4) | instskip(NEXT) | instid1(VALU_DEP_2)
	v_add_f64_e32 v[122:123], v[124:125], v[122:123]
	v_fma_f64 v[146:147], v[203:204], s[2:3], -v[134:135]
	v_fma_f64 v[124:125], v[203:204], s[2:3], v[134:135]
	v_fma_f64 v[134:135], v[187:188], s[10:11], -v[132:133]
	v_fma_f64 v[132:133], v[187:188], s[10:11], v[132:133]
	s_delay_alu instid0(VALU_DEP_4) | instskip(SKIP_2) | instid1(VALU_DEP_2)
	v_add_f64_e32 v[116:117], v[146:147], v[116:117]
	v_mul_f64_e32 v[146:147], s[20:21], v[205:206]
	v_add_f64_e32 v[120:121], v[124:125], v[120:121]
	v_fma_f64 v[148:149], v[207:208], s[2:3], v[146:147]
	v_fma_f64 v[124:125], v[207:208], s[2:3], -v[146:147]
	s_delay_alu instid0(VALU_DEP_2) | instskip(SKIP_1) | instid1(VALU_DEP_3)
	v_add_f64_e32 v[118:119], v[148:149], v[118:119]
	v_mul_f64_e32 v[148:149], s[22:23], v[209:210]
	v_add_f64_e32 v[122:123], v[124:125], v[122:123]
	s_delay_alu instid0(VALU_DEP_2) | instskip(SKIP_1) | instid1(VALU_DEP_2)
	v_fma_f64 v[150:151], v[211:212], s[14:15], -v[148:149]
	v_fma_f64 v[124:125], v[211:212], s[14:15], v[148:149]
	v_add_f64_e32 v[116:117], v[150:151], v[116:117]
	v_mul_f64_e32 v[150:151], s[22:23], v[213:214]
	s_delay_alu instid0(VALU_DEP_3) | instskip(SKIP_2) | instid1(VALU_DEP_4)
	v_add_f64_e32 v[120:121], v[124:125], v[120:121]
	v_fma_f64 v[124:125], v[179:180], s[14:15], -v[128:129]
	v_fma_f64 v[128:129], v[179:180], s[14:15], v[128:129]
	v_fma_f64 v[126:127], v[215:216], s[14:15], -v[150:151]
	v_fma_f64 v[217:218], v[215:216], s[14:15], v[150:151]
	s_delay_alu instid0(VALU_DEP_4) | instskip(NEXT) | instid1(VALU_DEP_4)
	v_add_f64_e32 v[124:125], v[124:125], v[152:153]
	v_add_f64_e32 v[128:129], v[128:129], v[154:155]
	s_delay_alu instid0(VALU_DEP_4) | instskip(SKIP_1) | instid1(VALU_DEP_4)
	v_add_f64_e32 v[122:123], v[126:127], v[122:123]
	v_fma_f64 v[126:127], v[183:184], s[14:15], v[130:131]
	v_add_f64_e32 v[124:125], v[134:135], v[124:125]
	v_mul_f64_e32 v[134:135], s[34:35], v[189:190]
	v_fma_f64 v[130:131], v[183:184], s[14:15], -v[130:131]
	v_add_f64_e32 v[128:129], v[132:133], v[128:129]
	v_add_f64_e32 v[118:119], v[217:218], v[118:119]
	;; [unrolled: 1-line block ×3, first 2 shown]
	v_fma_f64 v[142:143], v[191:192], s[10:11], v[134:135]
	v_add_f64_e32 v[130:131], v[130:131], v[140:141]
	v_fma_f64 v[132:133], v[191:192], s[10:11], -v[134:135]
	v_mul_f64_e32 v[140:141], s[30:31], v[177:178]
	s_delay_alu instid0(VALU_DEP_4) | instskip(SKIP_1) | instid1(VALU_DEP_4)
	v_add_f64_e32 v[126:127], v[142:143], v[126:127]
	v_mul_f64_e32 v[142:143], s[24:25], v[193:194]
	v_add_f64_e32 v[130:131], v[132:133], v[130:131]
	s_delay_alu instid0(VALU_DEP_2) | instskip(SKIP_2) | instid1(VALU_DEP_3)
	v_fma_f64 v[144:145], v[195:196], s[6:7], -v[142:143]
	v_fma_f64 v[132:133], v[195:196], s[6:7], v[142:143]
	v_mul_f64_e32 v[142:143], s[30:31], v[181:182]
	v_add_f64_e32 v[124:125], v[144:145], v[124:125]
	v_mul_f64_e32 v[144:145], s[24:25], v[197:198]
	s_delay_alu instid0(VALU_DEP_4) | instskip(NEXT) | instid1(VALU_DEP_2)
	v_add_f64_e32 v[128:129], v[132:133], v[128:129]
	v_fma_f64 v[146:147], v[199:200], s[6:7], v[144:145]
	v_fma_f64 v[132:133], v[199:200], s[6:7], -v[144:145]
	s_delay_alu instid0(VALU_DEP_2) | instskip(SKIP_1) | instid1(VALU_DEP_3)
	v_add_f64_e32 v[126:127], v[146:147], v[126:127]
	v_mul_f64_e32 v[146:147], s[40:41], v[201:202]
	v_add_f64_e32 v[130:131], v[132:133], v[130:131]
	s_delay_alu instid0(VALU_DEP_2) | instskip(SKIP_1) | instid1(VALU_DEP_2)
	v_fma_f64 v[148:149], v[203:204], s[16:17], -v[146:147]
	v_fma_f64 v[132:133], v[203:204], s[16:17], v[146:147]
	v_add_f64_e32 v[124:125], v[148:149], v[124:125]
	v_mul_f64_e32 v[148:149], s[40:41], v[205:206]
	s_delay_alu instid0(VALU_DEP_3) | instskip(NEXT) | instid1(VALU_DEP_2)
	v_add_f64_e32 v[128:129], v[132:133], v[128:129]
	v_fma_f64 v[150:151], v[207:208], s[16:17], v[148:149]
	v_fma_f64 v[132:133], v[207:208], s[16:17], -v[148:149]
	s_delay_alu instid0(VALU_DEP_2) | instskip(SKIP_1) | instid1(VALU_DEP_3)
	v_add_f64_e32 v[126:127], v[150:151], v[126:127]
	v_mul_f64_e32 v[150:151], s[38:39], v[209:210]
	v_add_f64_e32 v[130:131], v[132:133], v[130:131]
	s_delay_alu instid0(VALU_DEP_2) | instskip(SKIP_1) | instid1(VALU_DEP_2)
	v_fma_f64 v[152:153], v[211:212], s[2:3], -v[150:151]
	v_fma_f64 v[132:133], v[211:212], s[2:3], v[150:151]
	v_add_f64_e32 v[124:125], v[152:153], v[124:125]
	v_mul_f64_e32 v[152:153], s[38:39], v[213:214]
	s_delay_alu instid0(VALU_DEP_3) | instskip(SKIP_2) | instid1(VALU_DEP_4)
	v_add_f64_e32 v[128:129], v[132:133], v[128:129]
	v_fma_f64 v[132:133], v[179:180], s[6:7], -v[140:141]
	v_fma_f64 v[140:141], v[179:180], s[6:7], v[140:141]
	v_fma_f64 v[134:135], v[215:216], s[2:3], -v[152:153]
	v_fma_f64 v[217:218], v[215:216], s[2:3], v[152:153]
	s_delay_alu instid0(VALU_DEP_4) | instskip(NEXT) | instid1(VALU_DEP_4)
	v_add_f64_e32 v[132:133], v[132:133], v[165:166]
	v_add_f64_e32 v[140:141], v[140:141], v[167:168]
	s_delay_alu instid0(VALU_DEP_4) | instskip(SKIP_3) | instid1(VALU_DEP_3)
	v_add_f64_e32 v[130:131], v[134:135], v[130:131]
	v_fma_f64 v[134:135], v[183:184], s[6:7], v[142:143]
	v_fma_f64 v[142:143], v[183:184], s[6:7], -v[142:143]
	v_add_f64_e32 v[126:127], v[217:218], v[126:127]
	v_add_f64_e32 v[134:135], v[134:135], v[138:139]
	v_mul_f64_e32 v[138:139], s[20:21], v[185:186]
	s_delay_alu instid0(VALU_DEP_4) | instskip(NEXT) | instid1(VALU_DEP_2)
	v_add_f64_e32 v[136:137], v[142:143], v[136:137]
	v_fma_f64 v[144:145], v[187:188], s[2:3], -v[138:139]
	v_fma_f64 v[138:139], v[187:188], s[2:3], v[138:139]
	s_delay_alu instid0(VALU_DEP_2) | instskip(SKIP_1) | instid1(VALU_DEP_3)
	v_add_f64_e32 v[132:133], v[144:145], v[132:133]
	v_mul_f64_e32 v[144:145], s[20:21], v[189:190]
	v_add_f64_e32 v[138:139], v[138:139], v[140:141]
	s_delay_alu instid0(VALU_DEP_2) | instskip(SKIP_2) | instid1(VALU_DEP_3)
	v_fma_f64 v[146:147], v[191:192], s[2:3], v[144:145]
	v_fma_f64 v[140:141], v[191:192], s[2:3], -v[144:145]
	v_mul_f64_e32 v[144:145], s[34:35], v[177:178]
	v_add_f64_e32 v[134:135], v[146:147], v[134:135]
	v_mul_f64_e32 v[146:147], s[40:41], v[193:194]
	s_delay_alu instid0(VALU_DEP_4) | instskip(NEXT) | instid1(VALU_DEP_2)
	v_add_f64_e32 v[136:137], v[140:141], v[136:137]
	v_fma_f64 v[148:149], v[195:196], s[16:17], -v[146:147]
	v_fma_f64 v[140:141], v[195:196], s[16:17], v[146:147]
	v_mul_f64_e32 v[146:147], s[34:35], v[181:182]
	v_mul_f64_e32 v[181:182], s[30:31], v[163:164]
	s_delay_alu instid0(VALU_DEP_4) | instskip(SKIP_2) | instid1(VALU_DEP_2)
	v_add_f64_e32 v[132:133], v[148:149], v[132:133]
	v_mul_f64_e32 v[148:149], s[40:41], v[197:198]
	v_add_f64_e32 v[138:139], v[140:141], v[138:139]
	v_fma_f64 v[150:151], v[199:200], s[16:17], v[148:149]
	v_fma_f64 v[140:141], v[199:200], s[16:17], -v[148:149]
	v_mul_f64_e32 v[148:149], s[22:23], v[185:186]
	s_delay_alu instid0(VALU_DEP_3) | instskip(SKIP_1) | instid1(VALU_DEP_4)
	v_add_f64_e32 v[134:135], v[150:151], v[134:135]
	v_mul_f64_e32 v[150:151], s[34:35], v[201:202]
	v_add_f64_e32 v[136:137], v[140:141], v[136:137]
	s_delay_alu instid0(VALU_DEP_2) | instskip(SKIP_3) | instid1(VALU_DEP_4)
	v_fma_f64 v[152:153], v[203:204], s[10:11], -v[150:151]
	v_fma_f64 v[140:141], v[203:204], s[10:11], v[150:151]
	v_fma_f64 v[150:151], v[187:188], s[14:15], -v[148:149]
	v_fma_f64 v[148:149], v[187:188], s[14:15], v[148:149]
	v_add_f64_e32 v[132:133], v[152:153], v[132:133]
	v_mul_f64_e32 v[152:153], s[34:35], v[205:206]
	v_add_f64_e32 v[138:139], v[140:141], v[138:139]
	s_delay_alu instid0(VALU_DEP_2) | instskip(SKIP_1) | instid1(VALU_DEP_2)
	v_fma_f64 v[154:155], v[207:208], s[10:11], v[152:153]
	v_fma_f64 v[140:141], v[207:208], s[10:11], -v[152:153]
	v_add_f64_e32 v[134:135], v[154:155], v[134:135]
	v_mul_f64_e32 v[154:155], s[18:19], v[209:210]
	s_delay_alu instid0(VALU_DEP_3) | instskip(NEXT) | instid1(VALU_DEP_2)
	v_add_f64_e32 v[140:141], v[140:141], v[136:137]
	v_fma_f64 v[165:166], v[211:212], s[12:13], -v[154:155]
	v_fma_f64 v[136:137], v[211:212], s[12:13], v[154:155]
	s_delay_alu instid0(VALU_DEP_2) | instskip(SKIP_1) | instid1(VALU_DEP_3)
	v_add_f64_e32 v[132:133], v[165:166], v[132:133]
	v_mul_f64_e32 v[165:166], s[18:19], v[213:214]
	v_add_f64_e32 v[136:137], v[136:137], v[138:139]
	s_delay_alu instid0(VALU_DEP_2) | instskip(SKIP_1) | instid1(VALU_DEP_2)
	v_fma_f64 v[142:143], v[215:216], s[12:13], -v[165:166]
	v_fma_f64 v[217:218], v[215:216], s[12:13], v[165:166]
	v_add_f64_e32 v[138:139], v[142:143], v[140:141]
	v_fma_f64 v[140:141], v[179:180], s[10:11], -v[144:145]
	v_fma_f64 v[142:143], v[183:184], s[10:11], v[146:147]
	v_fma_f64 v[144:145], v[179:180], s[10:11], v[144:145]
	v_fma_f64 v[146:147], v[183:184], s[10:11], -v[146:147]
	v_add_f64_e32 v[134:135], v[217:218], v[134:135]
	v_add_f64_e32 v[140:141], v[140:141], v[169:170]
	;; [unrolled: 1-line block ×5, first 2 shown]
	v_mul_f64_e32 v[171:172], s[30:31], v[213:214]
	v_add_f64_e64 v[175:176], v[24:25], -v[28:29]
	v_add_f64_e32 v[140:141], v[150:151], v[140:141]
	v_mul_f64_e32 v[150:151], s[22:23], v[189:190]
	v_add_f64_e32 v[144:145], v[148:149], v[144:145]
	s_delay_alu instid0(VALU_DEP_4) | instskip(NEXT) | instid1(VALU_DEP_3)
	v_mul_f64_e32 v[179:180], s[26:27], v[175:176]
	v_fma_f64 v[152:153], v[191:192], s[14:15], v[150:151]
	v_fma_f64 v[150:151], v[191:192], s[14:15], -v[150:151]
	s_delay_alu instid0(VALU_DEP_2) | instskip(SKIP_1) | instid1(VALU_DEP_3)
	v_add_f64_e32 v[142:143], v[152:153], v[142:143]
	v_mul_f64_e32 v[152:153], s[38:39], v[193:194]
	v_add_f64_e32 v[146:147], v[150:151], v[146:147]
	s_delay_alu instid0(VALU_DEP_2) | instskip(SKIP_1) | instid1(VALU_DEP_2)
	v_fma_f64 v[154:155], v[195:196], s[2:3], -v[152:153]
	v_fma_f64 v[152:153], v[195:196], s[2:3], v[152:153]
	v_add_f64_e32 v[140:141], v[154:155], v[140:141]
	v_mul_f64_e32 v[154:155], s[38:39], v[197:198]
	s_delay_alu instid0(VALU_DEP_3) | instskip(NEXT) | instid1(VALU_DEP_2)
	v_add_f64_e32 v[144:145], v[152:153], v[144:145]
	v_fma_f64 v[165:166], v[199:200], s[2:3], v[154:155]
	v_fma_f64 v[154:155], v[199:200], s[2:3], -v[154:155]
	s_delay_alu instid0(VALU_DEP_2) | instskip(SKIP_1) | instid1(VALU_DEP_3)
	v_add_f64_e32 v[142:143], v[165:166], v[142:143]
	v_mul_f64_e32 v[165:166], s[18:19], v[201:202]
	v_add_f64_e32 v[146:147], v[154:155], v[146:147]
	v_fma_f64 v[154:155], v[215:216], s[6:7], -v[171:172]
	s_delay_alu instid0(VALU_DEP_3) | instskip(SKIP_2) | instid1(VALU_DEP_3)
	v_fma_f64 v[167:168], v[203:204], s[12:13], -v[165:166]
	v_fma_f64 v[148:149], v[203:204], s[12:13], v[165:166]
	v_add_f64_e32 v[165:166], v[22:23], v[34:35]
	v_add_f64_e32 v[140:141], v[167:168], v[140:141]
	v_mul_f64_e32 v[167:168], s[18:19], v[205:206]
	s_delay_alu instid0(VALU_DEP_4) | instskip(SKIP_1) | instid1(VALU_DEP_3)
	v_add_f64_e32 v[144:145], v[148:149], v[144:145]
	v_add_f64_e32 v[148:149], v[18:19], v[38:39]
	v_fma_f64 v[169:170], v[207:208], s[12:13], v[167:168]
	v_fma_f64 v[150:151], v[207:208], s[12:13], -v[167:168]
	v_mul_f64_e32 v[167:168], s[22:23], v[163:164]
	s_delay_alu instid0(VALU_DEP_3) | instskip(SKIP_1) | instid1(VALU_DEP_4)
	v_add_f64_e32 v[142:143], v[169:170], v[142:143]
	v_mul_f64_e32 v[169:170], s[30:31], v[209:210]
	v_add_f64_e32 v[146:147], v[150:151], v[146:147]
	s_delay_alu instid0(VALU_DEP_2) | instskip(SKIP_1) | instid1(VALU_DEP_3)
	v_fma_f64 v[177:178], v[211:212], s[6:7], -v[169:170]
	v_fma_f64 v[152:153], v[211:212], s[6:7], v[169:170]
	v_add_f64_e32 v[146:147], v[154:155], v[146:147]
	v_add_f64_e32 v[154:155], v[20:21], v[32:33]
	v_add_f64_e64 v[169:170], v[26:27], -v[30:31]
	v_add_f64_e32 v[140:141], v[177:178], v[140:141]
	v_fma_f64 v[177:178], v[215:216], s[6:7], v[171:172]
	v_add_f64_e32 v[144:145], v[152:153], v[144:145]
	v_add_f64_e64 v[152:153], v[22:23], -v[34:35]
	v_add_f64_e32 v[171:172], v[24:25], v[28:29]
	v_mul_f64_e32 v[173:174], s[26:27], v[169:170]
	v_mul_f64_e32 v[183:184], s[34:35], v[169:170]
	v_add_f64_e32 v[142:143], v[177:178], v[142:143]
	ds_store_b128 v56, v[104:107] offset:832
	ds_store_b128 v56, v[116:119] offset:1248
	;; [unrolled: 1-line block ×12, first 2 shown]
	ds_store_b128 v56, v[52:55]
	v_add_f64_e64 v[0:1], v[70:71], -v[50:51]
	v_add_f64_e64 v[116:117], v[10:11], -v[46:47]
	v_add_f64_e32 v[118:119], v[8:9], v[44:45]
	v_add_f64_e64 v[122:123], v[8:9], -v[44:45]
	v_add_f64_e64 v[128:129], v[14:15], -v[42:43]
	v_add_f64_e32 v[102:103], v[4:5], v[68:69]
	v_add_f64_e32 v[104:105], v[6:7], v[70:71]
	;; [unrolled: 1-line block ×4, first 2 shown]
	v_add_f64_e64 v[134:135], v[12:13], -v[40:41]
	v_add_f64_e32 v[136:137], v[14:15], v[42:43]
	v_add_f64_e64 v[140:141], v[18:19], -v[38:39]
	v_add_f64_e32 v[142:143], v[16:17], v[36:37]
	v_add_f64_e64 v[146:147], v[16:17], -v[36:37]
	v_mul_f64_e32 v[161:162], s[22:23], v[152:153]
	v_add_f64_e32 v[177:178], v[26:27], v[30:31]
	v_mul_f64_e32 v[2:3], s[28:29], v[0:1]
	v_mul_f64_e32 v[52:53], s[20:21], v[0:1]
	;; [unrolled: 1-line block ×12, first 2 shown]
	v_fma_f64 v[62:63], v[60:61], s[10:11], -v[2:3]
	v_fma_f64 v[2:3], v[60:61], s[10:11], v[2:3]
	v_fma_f64 v[64:65], v[60:61], s[2:3], -v[52:53]
	v_fma_f64 v[52:53], v[60:61], s[2:3], v[52:53]
	;; [unrolled: 2-line block ×6, first 2 shown]
	v_add_f64_e64 v[60:61], v[68:69], -v[48:49]
	v_add_f64_e32 v[62:63], v[4:5], v[62:63]
	v_add_f64_e32 v[106:107], v[4:5], v[2:3]
	;; [unrolled: 1-line block ×5, first 2 shown]
	v_fma_f64 v[52:53], v[124:125], s[2:3], v[126:127]
	v_add_f64_e32 v[72:73], v[4:5], v[72:73]
	v_add_f64_e32 v[110:111], v[4:5], v[76:77]
	v_mul_f64_e32 v[76:77], s[30:31], v[152:153]
	v_mul_f64_e32 v[78:79], s[28:29], v[60:61]
	;; [unrolled: 1-line block ×7, first 2 shown]
	v_fma_f64 v[90:91], v[88:89], s[10:11], v[78:79]
	v_fma_f64 v[78:79], v[88:89], s[10:11], -v[78:79]
	v_fma_f64 v[92:93], v[88:89], s[2:3], v[80:81]
	v_fma_f64 v[80:81], v[88:89], s[2:3], -v[80:81]
	v_fma_f64 v[94:95], v[88:89], s[6:7], v[82:83]
	v_fma_f64 v[96:97], v[88:89], s[12:13], v[84:85]
	;; [unrolled: 1-line block ×3, first 2 shown]
	v_fma_f64 v[82:83], v[88:89], s[6:7], -v[82:83]
	v_fma_f64 v[84:85], v[88:89], s[12:13], -v[84:85]
	;; [unrolled: 1-line block ×3, first 2 shown]
	v_fma_f64 v[100:101], v[88:89], s[16:17], v[60:61]
	v_fma_f64 v[60:61], v[88:89], s[16:17], -v[60:61]
	v_add_f64_e32 v[88:89], v[4:5], v[54:55]
	v_fma_f64 v[54:55], v[130:131], s[6:7], -v[132:133]
	v_add_f64_e32 v[68:69], v[6:7], v[90:91]
	v_add_f64_e32 v[108:109], v[6:7], v[78:79]
	;; [unrolled: 1-line block ×11, first 2 shown]
	v_fma_f64 v[0:1], v[118:119], s[2:3], -v[120:121]
	v_add_f64_e32 v[82:83], v[6:7], v[82:83]
	v_add_f64_e32 v[84:85], v[6:7], v[84:85]
	;; [unrolled: 1-line block ×5, first 2 shown]
	v_mul_f64_e32 v[60:61], s[18:19], v[122:123]
	v_mul_f64_e32 v[74:75], s[36:37], v[146:147]
	v_add_f64_e32 v[52:53], v[52:53], v[68:69]
	v_mul_f64_e32 v[68:69], s[36:37], v[140:141]
	v_add_f64_e32 v[0:1], v[0:1], v[62:63]
	v_mul_f64_e32 v[62:63], s[26:27], v[128:129]
	s_delay_alu instid0(VALU_DEP_2) | instskip(SKIP_1) | instid1(VALU_DEP_3)
	v_add_f64_e32 v[0:1], v[54:55], v[0:1]
	v_fma_f64 v[54:55], v[136:137], s[6:7], v[138:139]
	v_fma_f64 v[58:59], v[130:131], s[16:17], -v[62:63]
	v_fma_f64 v[62:63], v[130:131], s[16:17], v[62:63]
	s_delay_alu instid0(VALU_DEP_3) | instskip(SKIP_1) | instid1(VALU_DEP_1)
	v_add_f64_e32 v[52:53], v[54:55], v[52:53]
	v_fma_f64 v[54:55], v[142:143], s[12:13], -v[144:145]
	v_add_f64_e32 v[0:1], v[54:55], v[0:1]
	v_fma_f64 v[54:55], v[148:149], s[12:13], v[150:151]
	s_delay_alu instid0(VALU_DEP_1) | instskip(SKIP_1) | instid1(VALU_DEP_1)
	v_add_f64_e32 v[52:53], v[54:55], v[52:53]
	v_fma_f64 v[54:55], v[154:155], s[14:15], -v[161:162]
	v_add_f64_e32 v[0:1], v[54:55], v[0:1]
	v_fma_f64 v[54:55], v[165:166], s[14:15], v[167:168]
	s_delay_alu instid0(VALU_DEP_1) | instskip(SKIP_1) | instid1(VALU_DEP_1)
	;; [unrolled: 5-line block ×3, first 2 shown]
	v_add_f64_e32 v[54:55], v[0:1], v[54:55]
	v_mul_f64_e32 v[0:1], s[18:19], v[116:117]
	v_fma_f64 v[56:57], v[118:119], s[12:13], -v[0:1]
	v_fma_f64 v[0:1], v[118:119], s[12:13], v[0:1]
	s_delay_alu instid0(VALU_DEP_2) | instskip(SKIP_1) | instid1(VALU_DEP_3)
	v_add_f64_e32 v[2:3], v[56:57], v[2:3]
	v_fma_f64 v[56:57], v[124:125], s[12:13], v[60:61]
	v_add_f64_e32 v[0:1], v[0:1], v[70:71]
	v_fma_f64 v[60:61], v[124:125], s[12:13], -v[60:61]
	s_delay_alu instid0(VALU_DEP_4) | instskip(NEXT) | instid1(VALU_DEP_4)
	v_add_f64_e32 v[2:3], v[58:59], v[2:3]
	v_add_f64_e32 v[56:57], v[56:57], v[64:65]
	v_mul_f64_e32 v[64:65], s[26:27], v[134:135]
	s_delay_alu instid0(VALU_DEP_4) | instskip(SKIP_1) | instid1(VALU_DEP_3)
	v_add_f64_e32 v[60:61], v[60:61], v[78:79]
	v_add_f64_e32 v[0:1], v[62:63], v[0:1]
	v_fma_f64 v[58:59], v[136:137], s[16:17], v[64:65]
	v_fma_f64 v[62:63], v[136:137], s[16:17], -v[64:65]
	v_mul_f64_e32 v[64:65], s[26:27], v[116:117]
	s_delay_alu instid0(VALU_DEP_3) | instskip(SKIP_1) | instid1(VALU_DEP_4)
	v_add_f64_e32 v[56:57], v[58:59], v[56:57]
	v_fma_f64 v[58:59], v[142:143], s[14:15], -v[68:69]
	v_add_f64_e32 v[60:61], v[62:63], v[60:61]
	v_fma_f64 v[62:63], v[142:143], s[14:15], v[68:69]
	v_mul_f64_e32 v[68:69], s[42:43], v[128:129]
	s_delay_alu instid0(VALU_DEP_4) | instskip(SKIP_1) | instid1(VALU_DEP_4)
	v_add_f64_e32 v[2:3], v[58:59], v[2:3]
	v_fma_f64 v[58:59], v[148:149], s[14:15], v[74:75]
	v_add_f64_e32 v[0:1], v[62:63], v[0:1]
	v_fma_f64 v[62:63], v[148:149], s[14:15], -v[74:75]
	v_fma_f64 v[70:71], v[130:131], s[12:13], -v[68:69]
	v_fma_f64 v[68:69], v[130:131], s[12:13], v[68:69]
	v_add_f64_e32 v[56:57], v[58:59], v[56:57]
	v_fma_f64 v[58:59], v[154:155], s[6:7], -v[76:77]
	v_add_f64_e32 v[60:61], v[62:63], v[60:61]
	v_fma_f64 v[62:63], v[154:155], s[6:7], v[76:77]
	s_delay_alu instid0(VALU_DEP_3) | instskip(SKIP_1) | instid1(VALU_DEP_3)
	v_add_f64_e32 v[2:3], v[58:59], v[2:3]
	v_fma_f64 v[58:59], v[165:166], s[6:7], v[181:182]
	v_add_f64_e32 v[0:1], v[62:63], v[0:1]
	v_fma_f64 v[62:63], v[165:166], s[6:7], -v[181:182]
	s_delay_alu instid0(VALU_DEP_3) | instskip(SKIP_1) | instid1(VALU_DEP_3)
	v_add_f64_e32 v[58:59], v[58:59], v[56:57]
	v_fma_f64 v[56:57], v[171:172], s[10:11], -v[183:184]
	v_add_f64_e32 v[60:61], v[62:63], v[60:61]
	v_fma_f64 v[62:63], v[171:172], s[10:11], v[183:184]
	s_delay_alu instid0(VALU_DEP_3) | instskip(SKIP_1) | instid1(VALU_DEP_3)
	v_add_f64_e32 v[56:57], v[56:57], v[2:3]
	v_mul_f64_e32 v[2:3], s[34:35], v[175:176]
	v_add_f64_e32 v[0:1], v[62:63], v[0:1]
	s_delay_alu instid0(VALU_DEP_2) | instskip(SKIP_1) | instid1(VALU_DEP_2)
	v_fma_f64 v[185:186], v[177:178], s[10:11], v[2:3]
	v_fma_f64 v[2:3], v[177:178], s[10:11], -v[2:3]
	v_add_f64_e32 v[58:59], v[185:186], v[58:59]
	s_delay_alu instid0(VALU_DEP_2) | instskip(SKIP_2) | instid1(VALU_DEP_2)
	v_add_f64_e32 v[2:3], v[2:3], v[60:61]
	v_fma_f64 v[60:61], v[118:119], s[16:17], -v[64:65]
	v_fma_f64 v[64:65], v[118:119], s[16:17], v[64:65]
	v_add_f64_e32 v[60:61], v[60:61], v[66:67]
	v_mul_f64_e32 v[66:67], s[26:27], v[122:123]
	s_delay_alu instid0(VALU_DEP_3) | instskip(NEXT) | instid1(VALU_DEP_3)
	v_add_f64_e32 v[64:65], v[64:65], v[88:89]
	v_add_f64_e32 v[60:61], v[70:71], v[60:61]
	s_delay_alu instid0(VALU_DEP_3) | instskip(SKIP_3) | instid1(VALU_DEP_4)
	v_fma_f64 v[62:63], v[124:125], s[16:17], v[66:67]
	v_mul_f64_e32 v[70:71], s[42:43], v[134:135]
	v_fma_f64 v[66:67], v[124:125], s[16:17], -v[66:67]
	v_add_f64_e32 v[64:65], v[68:69], v[64:65]
	v_add_f64_e32 v[62:63], v[62:63], v[80:81]
	s_delay_alu instid0(VALU_DEP_4) | instskip(NEXT) | instid1(VALU_DEP_4)
	v_fma_f64 v[74:75], v[136:137], s[12:13], v[70:71]
	v_add_f64_e32 v[66:67], v[66:67], v[82:83]
	v_fma_f64 v[68:69], v[136:137], s[12:13], -v[70:71]
	s_delay_alu instid0(VALU_DEP_3) | instskip(SKIP_1) | instid1(VALU_DEP_3)
	v_add_f64_e32 v[62:63], v[74:75], v[62:63]
	v_mul_f64_e32 v[74:75], s[34:35], v[140:141]
	v_add_f64_e32 v[66:67], v[68:69], v[66:67]
	s_delay_alu instid0(VALU_DEP_2) | instskip(SKIP_2) | instid1(VALU_DEP_3)
	v_fma_f64 v[76:77], v[142:143], s[10:11], -v[74:75]
	v_fma_f64 v[68:69], v[142:143], s[10:11], v[74:75]
	v_mul_f64_e32 v[74:75], s[36:37], v[116:117]
	v_add_f64_e32 v[60:61], v[76:77], v[60:61]
	v_mul_f64_e32 v[76:77], s[34:35], v[146:147]
	s_delay_alu instid0(VALU_DEP_4) | instskip(NEXT) | instid1(VALU_DEP_2)
	v_add_f64_e32 v[64:65], v[68:69], v[64:65]
	v_fma_f64 v[78:79], v[148:149], s[10:11], v[76:77]
	v_fma_f64 v[68:69], v[148:149], s[10:11], -v[76:77]
	v_mul_f64_e32 v[76:77], s[34:35], v[128:129]
	s_delay_alu instid0(VALU_DEP_3) | instskip(SKIP_1) | instid1(VALU_DEP_4)
	v_add_f64_e32 v[62:63], v[78:79], v[62:63]
	v_mul_f64_e32 v[78:79], s[20:21], v[152:153]
	v_add_f64_e32 v[66:67], v[68:69], v[66:67]
	s_delay_alu instid0(VALU_DEP_2) | instskip(SKIP_3) | instid1(VALU_DEP_4)
	v_fma_f64 v[80:81], v[154:155], s[2:3], -v[78:79]
	v_fma_f64 v[68:69], v[154:155], s[2:3], v[78:79]
	v_fma_f64 v[78:79], v[130:131], s[10:11], -v[76:77]
	v_fma_f64 v[76:77], v[130:131], s[10:11], v[76:77]
	v_add_f64_e32 v[60:61], v[80:81], v[60:61]
	v_mul_f64_e32 v[80:81], s[20:21], v[163:164]
	v_add_f64_e32 v[64:65], v[68:69], v[64:65]
	s_delay_alu instid0(VALU_DEP_2) | instskip(SKIP_1) | instid1(VALU_DEP_2)
	v_fma_f64 v[181:182], v[165:166], s[2:3], v[80:81]
	v_fma_f64 v[68:69], v[165:166], s[2:3], -v[80:81]
	v_add_f64_e32 v[62:63], v[181:182], v[62:63]
	v_mul_f64_e32 v[181:182], s[22:23], v[169:170]
	s_delay_alu instid0(VALU_DEP_3) | instskip(NEXT) | instid1(VALU_DEP_2)
	v_add_f64_e32 v[66:67], v[68:69], v[66:67]
	v_fma_f64 v[183:184], v[171:172], s[14:15], -v[181:182]
	v_fma_f64 v[68:69], v[171:172], s[14:15], v[181:182]
	s_delay_alu instid0(VALU_DEP_2) | instskip(SKIP_1) | instid1(VALU_DEP_3)
	v_add_f64_e32 v[60:61], v[183:184], v[60:61]
	v_mul_f64_e32 v[183:184], s[22:23], v[175:176]
	v_add_f64_e32 v[64:65], v[68:69], v[64:65]
	v_fma_f64 v[68:69], v[118:119], s[14:15], -v[74:75]
	v_fma_f64 v[74:75], v[118:119], s[14:15], v[74:75]
	s_delay_alu instid0(VALU_DEP_4) | instskip(SKIP_1) | instid1(VALU_DEP_4)
	v_fma_f64 v[70:71], v[177:178], s[14:15], -v[183:184]
	v_fma_f64 v[185:186], v[177:178], s[14:15], v[183:184]
	v_add_f64_e32 v[68:69], v[68:69], v[72:73]
	v_mul_f64_e32 v[72:73], s[36:37], v[122:123]
	v_add_f64_e32 v[74:75], v[74:75], v[92:93]
	v_add_f64_e32 v[66:67], v[70:71], v[66:67]
	;; [unrolled: 1-line block ×4, first 2 shown]
	v_fma_f64 v[70:71], v[124:125], s[14:15], v[72:73]
	v_mul_f64_e32 v[78:79], s[34:35], v[134:135]
	v_fma_f64 v[72:73], v[124:125], s[14:15], -v[72:73]
	v_add_f64_e32 v[74:75], v[76:77], v[74:75]
	s_delay_alu instid0(VALU_DEP_4) | instskip(NEXT) | instid1(VALU_DEP_4)
	v_add_f64_e32 v[70:71], v[70:71], v[90:91]
	v_fma_f64 v[80:81], v[136:137], s[10:11], v[78:79]
	s_delay_alu instid0(VALU_DEP_4) | instskip(SKIP_2) | instid1(VALU_DEP_4)
	v_add_f64_e32 v[72:73], v[72:73], v[84:85]
	v_fma_f64 v[76:77], v[136:137], s[10:11], -v[78:79]
	v_mul_f64_e32 v[84:85], s[20:21], v[128:129]
	v_add_f64_e32 v[70:71], v[80:81], v[70:71]
	v_mul_f64_e32 v[80:81], s[24:25], v[140:141]
	s_delay_alu instid0(VALU_DEP_4) | instskip(NEXT) | instid1(VALU_DEP_2)
	v_add_f64_e32 v[72:73], v[76:77], v[72:73]
	v_fma_f64 v[82:83], v[142:143], s[6:7], -v[80:81]
	v_fma_f64 v[76:77], v[142:143], s[6:7], v[80:81]
	v_mul_f64_e32 v[80:81], s[30:31], v[116:117]
	s_delay_alu instid0(VALU_DEP_3) | instskip(SKIP_1) | instid1(VALU_DEP_4)
	v_add_f64_e32 v[68:69], v[82:83], v[68:69]
	v_mul_f64_e32 v[82:83], s[24:25], v[146:147]
	v_add_f64_e32 v[74:75], v[76:77], v[74:75]
	s_delay_alu instid0(VALU_DEP_2) | instskip(SKIP_2) | instid1(VALU_DEP_3)
	v_fma_f64 v[88:89], v[148:149], s[6:7], v[82:83]
	v_fma_f64 v[76:77], v[148:149], s[6:7], -v[82:83]
	v_mul_f64_e32 v[82:83], s[30:31], v[122:123]
	v_add_f64_e32 v[70:71], v[88:89], v[70:71]
	v_mul_f64_e32 v[88:89], s[40:41], v[152:153]
	s_delay_alu instid0(VALU_DEP_4) | instskip(NEXT) | instid1(VALU_DEP_2)
	v_add_f64_e32 v[72:73], v[76:77], v[72:73]
	v_fma_f64 v[90:91], v[154:155], s[16:17], -v[88:89]
	v_fma_f64 v[76:77], v[154:155], s[16:17], v[88:89]
	v_fma_f64 v[88:89], v[130:131], s[2:3], -v[84:85]
	v_fma_f64 v[84:85], v[130:131], s[2:3], v[84:85]
	s_delay_alu instid0(VALU_DEP_4) | instskip(SKIP_2) | instid1(VALU_DEP_2)
	v_add_f64_e32 v[68:69], v[90:91], v[68:69]
	v_mul_f64_e32 v[90:91], s[40:41], v[163:164]
	v_add_f64_e32 v[74:75], v[76:77], v[74:75]
	v_fma_f64 v[181:182], v[165:166], s[16:17], v[90:91]
	v_fma_f64 v[76:77], v[165:166], s[16:17], -v[90:91]
	s_delay_alu instid0(VALU_DEP_2) | instskip(SKIP_1) | instid1(VALU_DEP_3)
	v_add_f64_e32 v[70:71], v[181:182], v[70:71]
	v_mul_f64_e32 v[181:182], s[38:39], v[169:170]
	v_add_f64_e32 v[76:77], v[76:77], v[72:73]
	s_delay_alu instid0(VALU_DEP_2) | instskip(SKIP_1) | instid1(VALU_DEP_2)
	v_fma_f64 v[183:184], v[171:172], s[2:3], -v[181:182]
	v_fma_f64 v[72:73], v[171:172], s[2:3], v[181:182]
	v_add_f64_e32 v[68:69], v[183:184], v[68:69]
	v_mul_f64_e32 v[183:184], s[38:39], v[175:176]
	s_delay_alu instid0(VALU_DEP_3) | instskip(NEXT) | instid1(VALU_DEP_2)
	v_add_f64_e32 v[72:73], v[72:73], v[74:75]
	v_fma_f64 v[78:79], v[177:178], s[2:3], -v[183:184]
	v_fma_f64 v[185:186], v[177:178], s[2:3], v[183:184]
	s_delay_alu instid0(VALU_DEP_2)
	v_add_f64_e32 v[74:75], v[78:79], v[76:77]
	v_fma_f64 v[76:77], v[118:119], s[6:7], -v[80:81]
	v_fma_f64 v[78:79], v[124:125], s[6:7], v[82:83]
	v_fma_f64 v[80:81], v[118:119], s[6:7], v[80:81]
	v_fma_f64 v[82:83], v[124:125], s[6:7], -v[82:83]
	v_add_f64_e32 v[70:71], v[185:186], v[70:71]
	v_add_f64_e32 v[76:77], v[76:77], v[94:95]
	;; [unrolled: 1-line block ×5, first 2 shown]
	s_delay_alu instid0(VALU_DEP_4) | instskip(SKIP_1) | instid1(VALU_DEP_4)
	v_add_f64_e32 v[76:77], v[88:89], v[76:77]
	v_mul_f64_e32 v[88:89], s[20:21], v[134:135]
	v_add_f64_e32 v[80:81], v[84:85], v[80:81]
	s_delay_alu instid0(VALU_DEP_2) | instskip(SKIP_2) | instid1(VALU_DEP_3)
	v_fma_f64 v[90:91], v[136:137], s[2:3], v[88:89]
	v_fma_f64 v[84:85], v[136:137], s[2:3], -v[88:89]
	v_mul_f64_e32 v[88:89], s[34:35], v[116:117]
	v_add_f64_e32 v[78:79], v[90:91], v[78:79]
	v_mul_f64_e32 v[90:91], s[40:41], v[140:141]
	s_delay_alu instid0(VALU_DEP_4) | instskip(NEXT) | instid1(VALU_DEP_2)
	v_add_f64_e32 v[82:83], v[84:85], v[82:83]
	v_fma_f64 v[92:93], v[142:143], s[16:17], -v[90:91]
	v_fma_f64 v[84:85], v[142:143], s[16:17], v[90:91]
	v_mul_f64_e32 v[90:91], s[34:35], v[122:123]
	v_mul_f64_e32 v[122:123], s[30:31], v[175:176]
	s_delay_alu instid0(VALU_DEP_4) | instskip(SKIP_2) | instid1(VALU_DEP_2)
	v_add_f64_e32 v[76:77], v[92:93], v[76:77]
	v_mul_f64_e32 v[92:93], s[40:41], v[146:147]
	v_add_f64_e32 v[80:81], v[84:85], v[80:81]
	v_fma_f64 v[94:95], v[148:149], s[16:17], v[92:93]
	v_fma_f64 v[84:85], v[148:149], s[16:17], -v[92:93]
	v_mul_f64_e32 v[92:93], s[22:23], v[128:129]
	s_delay_alu instid0(VALU_DEP_3) | instskip(SKIP_1) | instid1(VALU_DEP_4)
	v_add_f64_e32 v[78:79], v[94:95], v[78:79]
	v_mul_f64_e32 v[94:95], s[34:35], v[152:153]
	v_add_f64_e32 v[82:83], v[84:85], v[82:83]
	s_delay_alu instid0(VALU_DEP_2) | instskip(SKIP_2) | instid1(VALU_DEP_3)
	v_fma_f64 v[96:97], v[154:155], s[10:11], -v[94:95]
	v_fma_f64 v[84:85], v[154:155], s[10:11], v[94:95]
	v_fma_f64 v[94:95], v[130:131], s[14:15], -v[92:93]
	v_add_f64_e32 v[76:77], v[96:97], v[76:77]
	v_mul_f64_e32 v[96:97], s[34:35], v[163:164]
	s_delay_alu instid0(VALU_DEP_4) | instskip(NEXT) | instid1(VALU_DEP_2)
	v_add_f64_e32 v[80:81], v[84:85], v[80:81]
	v_fma_f64 v[181:182], v[165:166], s[10:11], v[96:97]
	v_fma_f64 v[84:85], v[165:166], s[10:11], -v[96:97]
	s_delay_alu instid0(VALU_DEP_2) | instskip(SKIP_1) | instid1(VALU_DEP_3)
	v_add_f64_e32 v[78:79], v[181:182], v[78:79]
	v_mul_f64_e32 v[181:182], s[18:19], v[169:170]
	v_add_f64_e32 v[82:83], v[84:85], v[82:83]
	s_delay_alu instid0(VALU_DEP_2) | instskip(SKIP_1) | instid1(VALU_DEP_2)
	v_fma_f64 v[183:184], v[171:172], s[12:13], -v[181:182]
	v_fma_f64 v[84:85], v[171:172], s[12:13], v[181:182]
	v_add_f64_e32 v[76:77], v[183:184], v[76:77]
	v_mul_f64_e32 v[183:184], s[18:19], v[175:176]
	s_delay_alu instid0(VALU_DEP_3) | instskip(SKIP_2) | instid1(VALU_DEP_4)
	v_add_f64_e32 v[80:81], v[84:85], v[80:81]
	v_fma_f64 v[84:85], v[118:119], s[10:11], -v[88:89]
	v_fma_f64 v[88:89], v[118:119], s[10:11], v[88:89]
	v_fma_f64 v[86:87], v[177:178], s[12:13], -v[183:184]
	v_fma_f64 v[185:186], v[177:178], s[12:13], v[183:184]
	s_delay_alu instid0(VALU_DEP_4) | instskip(NEXT) | instid1(VALU_DEP_4)
	v_add_f64_e32 v[84:85], v[84:85], v[110:111]
	v_add_f64_e32 v[4:5], v[88:89], v[4:5]
	v_fma_f64 v[88:89], v[124:125], s[10:11], -v[90:91]
	v_add_f64_e32 v[82:83], v[86:87], v[82:83]
	v_fma_f64 v[86:87], v[124:125], s[10:11], v[90:91]
	v_add_f64_e32 v[84:85], v[94:95], v[84:85]
	v_mul_f64_e32 v[94:95], s[22:23], v[134:135]
	v_add_f64_e32 v[6:7], v[88:89], v[6:7]
	v_fma_f64 v[88:89], v[130:131], s[14:15], v[92:93]
	v_fma_f64 v[90:91], v[177:178], s[6:7], -v[122:123]
	v_add_f64_e32 v[78:79], v[185:186], v[78:79]
	v_add_f64_e32 v[86:87], v[86:87], v[100:101]
	v_fma_f64 v[96:97], v[136:137], s[14:15], v[94:95]
	v_add_f64_e32 v[4:5], v[88:89], v[4:5]
	v_fma_f64 v[88:89], v[136:137], s[14:15], -v[94:95]
	s_delay_alu instid0(VALU_DEP_3) | instskip(SKIP_1) | instid1(VALU_DEP_3)
	v_add_f64_e32 v[86:87], v[96:97], v[86:87]
	v_mul_f64_e32 v[96:97], s[38:39], v[140:141]
	v_add_f64_e32 v[6:7], v[88:89], v[6:7]
	s_delay_alu instid0(VALU_DEP_2) | instskip(SKIP_1) | instid1(VALU_DEP_2)
	v_fma_f64 v[98:99], v[142:143], s[2:3], -v[96:97]
	v_fma_f64 v[88:89], v[142:143], s[2:3], v[96:97]
	v_add_f64_e32 v[84:85], v[98:99], v[84:85]
	v_mul_f64_e32 v[98:99], s[38:39], v[146:147]
	s_delay_alu instid0(VALU_DEP_3) | instskip(NEXT) | instid1(VALU_DEP_2)
	v_add_f64_e32 v[4:5], v[88:89], v[4:5]
	v_fma_f64 v[100:101], v[148:149], s[2:3], v[98:99]
	v_fma_f64 v[88:89], v[148:149], s[2:3], -v[98:99]
	s_delay_alu instid0(VALU_DEP_2) | instskip(SKIP_1) | instid1(VALU_DEP_3)
	v_add_f64_e32 v[86:87], v[100:101], v[86:87]
	v_mul_f64_e32 v[100:101], s[18:19], v[152:153]
	v_add_f64_e32 v[6:7], v[88:89], v[6:7]
	s_delay_alu instid0(VALU_DEP_2) | instskip(SKIP_1) | instid1(VALU_DEP_2)
	v_fma_f64 v[110:111], v[154:155], s[12:13], -v[100:101]
	v_fma_f64 v[88:89], v[154:155], s[12:13], v[100:101]
	v_add_f64_e32 v[84:85], v[110:111], v[84:85]
	v_mul_f64_e32 v[110:111], s[18:19], v[163:164]
	s_delay_alu instid0(VALU_DEP_3) | instskip(NEXT) | instid1(VALU_DEP_2)
	v_add_f64_e32 v[4:5], v[88:89], v[4:5]
	v_fma_f64 v[116:117], v[165:166], s[12:13], v[110:111]
	v_fma_f64 v[88:89], v[165:166], s[12:13], -v[110:111]
	s_delay_alu instid0(VALU_DEP_2) | instskip(SKIP_1) | instid1(VALU_DEP_3)
	v_add_f64_e32 v[86:87], v[116:117], v[86:87]
	v_mul_f64_e32 v[116:117], s[30:31], v[169:170]
	v_add_f64_e32 v[6:7], v[88:89], v[6:7]
	s_delay_alu instid0(VALU_DEP_2) | instskip(NEXT) | instid1(VALU_DEP_2)
	v_fma_f64 v[88:89], v[171:172], s[6:7], v[116:117]
	v_add_f64_e32 v[90:91], v[90:91], v[6:7]
	v_add_f64_e32 v[6:7], v[104:105], v[10:11]
	v_fma_f64 v[128:129], v[171:172], s[6:7], -v[116:117]
	s_delay_alu instid0(VALU_DEP_4) | instskip(SKIP_1) | instid1(VALU_DEP_4)
	v_add_f64_e32 v[88:89], v[88:89], v[4:5]
	v_add_f64_e32 v[4:5], v[102:103], v[8:9]
	;; [unrolled: 1-line block ×3, first 2 shown]
	v_fma_f64 v[14:15], v[136:137], s[6:7], -v[138:139]
	v_add_f64_e32 v[84:85], v[128:129], v[84:85]
	v_fma_f64 v[128:129], v[177:178], s[6:7], v[122:123]
	v_add_f64_e32 v[4:5], v[4:5], v[12:13]
	v_add_f64_e32 v[6:7], v[6:7], v[18:19]
	v_fma_f64 v[12:13], v[130:131], s[6:7], v[132:133]
	v_fma_f64 v[18:19], v[148:149], s[12:13], -v[150:151]
	v_add_f64_e32 v[86:87], v[128:129], v[86:87]
	v_add_f64_e32 v[4:5], v[4:5], v[16:17]
	;; [unrolled: 1-line block ×3, first 2 shown]
	v_fma_f64 v[16:17], v[142:143], s[12:13], v[144:145]
	s_delay_alu instid0(VALU_DEP_3) | instskip(NEXT) | instid1(VALU_DEP_3)
	v_add_f64_e32 v[4:5], v[4:5], v[20:21]
	v_add_f64_e32 v[6:7], v[6:7], v[26:27]
	s_delay_alu instid0(VALU_DEP_2) | instskip(NEXT) | instid1(VALU_DEP_2)
	v_add_f64_e32 v[4:5], v[4:5], v[24:25]
	v_add_f64_e32 v[6:7], v[6:7], v[30:31]
	s_delay_alu instid0(VALU_DEP_2) | instskip(NEXT) | instid1(VALU_DEP_2)
	;; [unrolled: 3-line block ×6, first 2 shown]
	v_add_f64_e32 v[4:5], v[4:5], v[44:45]
	v_add_f64_e32 v[10:11], v[6:7], v[50:51]
	v_fma_f64 v[6:7], v[124:125], s[2:3], -v[126:127]
	s_delay_alu instid0(VALU_DEP_3) | instskip(SKIP_1) | instid1(VALU_DEP_3)
	v_add_f64_e32 v[8:9], v[4:5], v[48:49]
	v_fma_f64 v[4:5], v[118:119], s[2:3], v[120:121]
	v_add_f64_e32 v[6:7], v[6:7], v[108:109]
	s_delay_alu instid0(VALU_DEP_2) | instskip(NEXT) | instid1(VALU_DEP_2)
	v_add_f64_e32 v[4:5], v[4:5], v[106:107]
	v_add_f64_e32 v[6:7], v[14:15], v[6:7]
	v_fma_f64 v[14:15], v[165:166], s[14:15], -v[167:168]
	s_delay_alu instid0(VALU_DEP_3) | instskip(SKIP_1) | instid1(VALU_DEP_4)
	v_add_f64_e32 v[4:5], v[12:13], v[4:5]
	v_fma_f64 v[12:13], v[154:155], s[14:15], v[161:162]
	v_add_f64_e32 v[6:7], v[18:19], v[6:7]
	v_fma_f64 v[18:19], v[177:178], s[16:17], -v[179:180]
	s_delay_alu instid0(VALU_DEP_4) | instskip(SKIP_1) | instid1(VALU_DEP_4)
	v_add_f64_e32 v[4:5], v[16:17], v[4:5]
	v_fma_f64 v[16:17], v[171:172], s[16:17], v[173:174]
	v_add_f64_e32 v[6:7], v[14:15], v[6:7]
                                        ; implicit-def: $vgpr14_vgpr15
	s_delay_alu instid0(VALU_DEP_3) | instskip(SKIP_1) | instid1(VALU_DEP_3)
	v_add_f64_e32 v[4:5], v[12:13], v[4:5]
	v_and_b32_e32 v12, 0xffff, v160
	v_add_f64_e32 v[6:7], v[18:19], v[6:7]
	v_lshlrev_b32_e32 v13, 4, v157
	s_delay_alu instid0(VALU_DEP_3) | instskip(NEXT) | instid1(VALU_DEP_1)
	v_mul_u32_u24_e32 v12, 0x1520, v12
	v_add3_u32 v12, 0, v12, v13
	v_add_f64_e32 v[4:5], v[16:17], v[4:5]
	ds_store_b128 v12, v[8:11]
	ds_store_b128 v12, v[52:55] offset:416
	ds_store_b128 v12, v[56:59] offset:832
	;; [unrolled: 1-line block ×12, first 2 shown]
	global_wb scope:SCOPE_SE
	s_wait_dscnt 0x0
	s_barrier_signal -1
	s_barrier_wait -1
	global_inv scope:SCOPE_SE
	ds_load_b128 v[16:19], v156
	ds_load_b128 v[20:23], v156 offset:832
	ds_load_b128 v[100:103], v156 offset:5408
	;; [unrolled: 1-line block ×23, first 2 shown]
                                        ; implicit-def: $vgpr10_vgpr11
	s_and_saveexec_b32 s1, s0
	s_cbranch_execz .LBB0_19
; %bb.18:
	ds_load_b128 v[0:3], v156 offset:4992
	ds_load_b128 v[4:7], v156 offset:10400
	;; [unrolled: 1-line block ×4, first 2 shown]
	v_mov_b32_e32 v158, v113
.LBB0_19:
	s_wait_alu 0xfffe
	s_or_b32 exec_lo, exec_lo, s1
	v_mul_u32_u24_e32 v113, 3, v112
	s_delay_alu instid0(VALU_DEP_1)
	v_lshlrev_b32_e32 v113, 4, v113
	s_clause 0x9
	global_load_b128 v[116:119], v113, s[4:5] offset:5376
	global_load_b128 v[120:123], v113, s[4:5] offset:5392
	;; [unrolled: 1-line block ×10, first 2 shown]
	v_add_nc_u32_e32 v157, 0x2700, v113
	s_clause 0x2
	global_load_b128 v[159:162], v113, s[4:5] offset:12880
	global_load_b128 v[163:166], v113, s[4:5] offset:12896
	;; [unrolled: 1-line block ×3, first 2 shown]
	v_add_nc_u32_e32 v113, 0x30c0, v113
	s_clause 0x4
	global_load_b128 v[171:174], v157, s[4:5] offset:5392
	global_load_b128 v[175:178], v157, s[4:5] offset:5408
	;; [unrolled: 1-line block ×5, first 2 shown]
	global_wb scope:SCOPE_SE
	s_wait_loadcnt_dscnt 0x0
	s_barrier_signal -1
	s_barrier_wait -1
	global_inv scope:SCOPE_SE
	v_mul_f64_e32 v[191:192], v[102:103], v[118:119]
	v_mul_f64_e32 v[118:119], v[100:101], v[118:119]
	;; [unrolled: 1-line block ×36, first 2 shown]
	v_fma_f64 v[100:101], v[100:101], v[116:117], -v[191:192]
	v_fma_f64 v[102:103], v[102:103], v[116:117], v[118:119]
	v_fma_f64 v[104:105], v[104:105], v[120:121], -v[193:194]
	v_fma_f64 v[106:107], v[106:107], v[120:121], v[122:123]
	;; [unrolled: 2-line block ×18, first 2 shown]
	v_add_f64_e64 v[104:105], v[16:17], -v[104:105]
	v_add_f64_e64 v[106:107], v[18:19], -v[106:107]
	;; [unrolled: 1-line block ×24, first 2 shown]
	v_fma_f64 v[120:121], v[16:17], 2.0, -v[104:105]
	v_fma_f64 v[122:123], v[18:19], 2.0, -v[106:107]
	v_fma_f64 v[48:49], v[100:101], 2.0, -v[108:109]
	v_fma_f64 v[50:51], v[102:103], 2.0, -v[110:111]
	v_add_f64_e64 v[16:17], v[104:105], -v[110:111]
	v_add_f64_e32 v[18:19], v[106:107], v[108:109]
	v_fma_f64 v[100:101], v[20:21], 2.0, -v[68:69]
	v_fma_f64 v[102:103], v[22:23], 2.0, -v[70:71]
	v_fma_f64 v[64:65], v[64:65], 2.0, -v[72:73]
	v_fma_f64 v[66:67], v[66:67], 2.0, -v[74:75]
	v_add_f64_e64 v[20:21], v[68:69], -v[74:75]
	v_add_f64_e32 v[22:23], v[70:71], v[72:73]
	;; [unrolled: 6-line block ×6, first 2 shown]
	v_add_f64_e64 v[40:41], v[120:121], -v[48:49]
	v_add_f64_e64 v[42:43], v[122:123], -v[50:51]
	;; [unrolled: 1-line block ×4, first 2 shown]
	v_fma_f64 v[64:65], v[104:105], 2.0, -v[16:17]
	v_fma_f64 v[66:67], v[106:107], 2.0, -v[18:19]
	;; [unrolled: 1-line block ×4, first 2 shown]
	v_add_f64_e64 v[48:49], v[124:125], -v[88:89]
	v_add_f64_e64 v[50:51], v[126:127], -v[90:91]
	v_fma_f64 v[72:73], v[92:93], 2.0, -v[24:25]
	v_fma_f64 v[74:75], v[94:95], 2.0, -v[26:27]
	v_add_f64_e64 v[52:53], v[128:129], -v[52:53]
	v_add_f64_e64 v[54:55], v[130:131], -v[54:55]
	;; [unrolled: 1-line block ×4, first 2 shown]
	v_fma_f64 v[76:77], v[116:117], 2.0, -v[28:29]
	v_fma_f64 v[78:79], v[118:119], 2.0, -v[30:31]
	v_fma_f64 v[80:81], v[80:81], 2.0, -v[32:33]
	v_fma_f64 v[82:83], v[82:83], 2.0, -v[34:35]
	v_add_f64_e64 v[60:61], v[136:137], -v[140:141]
	v_add_f64_e64 v[62:63], v[138:139], -v[142:143]
	v_fma_f64 v[84:85], v[84:85], 2.0, -v[36:37]
	v_fma_f64 v[86:87], v[86:87], 2.0, -v[38:39]
	;; [unrolled: 1-line block ×14, first 2 shown]
	ds_store_b128 v156, v[16:19] offset:16224
	ds_store_b128 v156, v[20:23] offset:17056
	;; [unrolled: 1-line block ×16, first 2 shown]
	ds_store_b128 v156, v[88:91]
	ds_store_b128 v156, v[92:95] offset:832
	ds_store_b128 v156, v[96:99] offset:1664
	;; [unrolled: 1-line block ×7, first 2 shown]
	s_and_saveexec_b32 s1, s0
	s_cbranch_execz .LBB0_21
; %bb.20:
	v_mul_i32_i24_e32 v16, 3, v158
	v_mov_b32_e32 v17, 0
	s_delay_alu instid0(VALU_DEP_1) | instskip(NEXT) | instid1(VALU_DEP_1)
	v_lshlrev_b64_e32 v[16:17], 4, v[16:17]
	v_add_co_u32 v24, s0, s4, v16
	s_wait_alu 0xf1ff
	s_delay_alu instid0(VALU_DEP_2)
	v_add_co_ci_u32_e64 v25, s0, s5, v17, s0
	s_clause 0x2
	global_load_b128 v[16:19], v[24:25], off offset:5392
	global_load_b128 v[20:23], v[24:25], off offset:5376
	;; [unrolled: 1-line block ×3, first 2 shown]
	s_wait_loadcnt 0x2
	v_mul_f64_e32 v[28:29], v[8:9], v[18:19]
	s_wait_loadcnt 0x1
	v_mul_f64_e32 v[30:31], v[6:7], v[22:23]
	v_mul_f64_e32 v[22:23], v[4:5], v[22:23]
	s_wait_loadcnt 0x0
	v_mul_f64_e32 v[32:33], v[12:13], v[26:27]
	v_mul_f64_e32 v[18:19], v[10:11], v[18:19]
	;; [unrolled: 1-line block ×3, first 2 shown]
	v_fma_f64 v[10:11], v[10:11], v[16:17], v[28:29]
	v_fma_f64 v[4:5], v[4:5], v[20:21], -v[30:31]
	v_fma_f64 v[6:7], v[6:7], v[20:21], v[22:23]
	v_fma_f64 v[14:15], v[14:15], v[24:25], v[32:33]
	v_fma_f64 v[8:9], v[8:9], v[16:17], -v[18:19]
	v_fma_f64 v[12:13], v[12:13], v[24:25], -v[26:27]
	v_add_f64_e64 v[10:11], v[2:3], -v[10:11]
	s_delay_alu instid0(VALU_DEP_4) | instskip(NEXT) | instid1(VALU_DEP_4)
	v_add_f64_e64 v[14:15], v[6:7], -v[14:15]
	v_add_f64_e64 v[8:9], v[0:1], -v[8:9]
	s_delay_alu instid0(VALU_DEP_4) | instskip(NEXT) | instid1(VALU_DEP_4)
	v_add_f64_e64 v[12:13], v[4:5], -v[12:13]
	v_fma_f64 v[16:17], v[2:3], 2.0, -v[10:11]
	s_delay_alu instid0(VALU_DEP_4) | instskip(NEXT) | instid1(VALU_DEP_4)
	v_fma_f64 v[6:7], v[6:7], 2.0, -v[14:15]
	v_fma_f64 v[18:19], v[0:1], 2.0, -v[8:9]
	s_delay_alu instid0(VALU_DEP_4) | instskip(SKIP_1) | instid1(VALU_DEP_4)
	v_fma_f64 v[0:1], v[4:5], 2.0, -v[12:13]
	v_add_f64_e32 v[2:3], v[10:11], v[12:13]
	v_add_f64_e64 v[6:7], v[16:17], -v[6:7]
	s_delay_alu instid0(VALU_DEP_3) | instskip(SKIP_1) | instid1(VALU_DEP_4)
	v_add_f64_e64 v[4:5], v[18:19], -v[0:1]
	v_add_f64_e64 v[0:1], v[8:9], -v[14:15]
	v_fma_f64 v[10:11], v[10:11], 2.0, -v[2:3]
	s_delay_alu instid0(VALU_DEP_4) | instskip(NEXT) | instid1(VALU_DEP_4)
	v_fma_f64 v[14:15], v[16:17], 2.0, -v[6:7]
	v_fma_f64 v[12:13], v[18:19], 2.0, -v[4:5]
	s_delay_alu instid0(VALU_DEP_4)
	v_fma_f64 v[8:9], v[8:9], 2.0, -v[0:1]
	ds_store_b128 v156, v[12:15] offset:4992
	ds_store_b128 v156, v[8:11] offset:10400
	ds_store_b128 v156, v[4:7] offset:15808
	ds_store_b128 v156, v[0:3] offset:21216
.LBB0_21:
	s_wait_alu 0xfffe
	s_or_b32 exec_lo, exec_lo, s1
	global_wb scope:SCOPE_SE
	s_wait_dscnt 0x0
	s_barrier_signal -1
	s_barrier_wait -1
	global_inv scope:SCOPE_SE
	s_and_saveexec_b32 s0, vcc_lo
	s_cbranch_execz .LBB0_23
; %bb.22:
	v_dual_mov_b32 v113, 0 :: v_dual_add_nc_u32 v8, 52, v112
	v_add_co_u32 v36, vcc_lo, s8, v114
	v_lshl_add_u32 v34, v112, 4, 0
	s_delay_alu instid0(VALU_DEP_3) | instskip(SKIP_4) | instid1(VALU_DEP_4)
	v_lshlrev_b64_e32 v[0:1], 4, v[112:113]
	s_wait_alu 0xfffd
	v_add_co_ci_u32_e32 v37, vcc_lo, s9, v115, vcc_lo
	v_dual_mov_b32 v9, v113 :: v_dual_add_nc_u32 v10, 0x68, v112
	v_dual_mov_b32 v11, v113 :: v_dual_add_nc_u32 v22, 0x9c, v112
	v_add_co_u32 v16, vcc_lo, v36, v0
	s_wait_alu 0xfffd
	v_add_co_ci_u32_e32 v17, vcc_lo, v37, v1, vcc_lo
	ds_load_b128 v[0:3], v34
	ds_load_b128 v[4:7], v34 offset:832
	v_lshlrev_b64_e32 v[18:19], 4, v[8:9]
	v_lshlrev_b64_e32 v[20:21], 4, v[10:11]
	ds_load_b128 v[8:11], v34 offset:1664
	ds_load_b128 v[12:15], v34 offset:2496
	v_dual_mov_b32 v23, v113 :: v_dual_add_nc_u32 v24, 0xd0, v112
	v_mov_b32_e32 v25, v113
	v_add_co_u32 v18, vcc_lo, v36, v18
	s_delay_alu instid0(VALU_DEP_3)
	v_lshlrev_b64_e32 v[22:23], 4, v[22:23]
	s_wait_alu 0xfffd
	v_add_co_ci_u32_e32 v19, vcc_lo, v37, v19, vcc_lo
	v_add_co_u32 v20, vcc_lo, v36, v20
	s_wait_alu 0xfffd
	v_add_co_ci_u32_e32 v21, vcc_lo, v37, v21, vcc_lo
	v_add_co_u32 v22, vcc_lo, v36, v22
	s_wait_alu 0xfffd
	v_add_co_ci_u32_e32 v23, vcc_lo, v37, v23, vcc_lo
	s_wait_dscnt 0x3
	global_store_b128 v[16:17], v[0:3], off
	s_wait_dscnt 0x2
	global_store_b128 v[18:19], v[4:7], off
	;; [unrolled: 2-line block ×4, first 2 shown]
	v_add_nc_u32_e32 v8, 0x104, v112
	v_lshlrev_b64_e32 v[0:1], 4, v[24:25]
	v_dual_mov_b32 v9, v113 :: v_dual_add_nc_u32 v10, 0x138, v112
	v_dual_mov_b32 v11, v113 :: v_dual_add_nc_u32 v22, 0x16c, v112
	;; [unrolled: 1-line block ×3, first 2 shown]
	s_delay_alu instid0(VALU_DEP_4)
	v_add_co_u32 v16, vcc_lo, v36, v0
	s_wait_alu 0xfffd
	v_add_co_ci_u32_e32 v17, vcc_lo, v37, v1, vcc_lo
	ds_load_b128 v[0:3], v34 offset:3328
	ds_load_b128 v[4:7], v34 offset:4160
	v_lshlrev_b64_e32 v[18:19], 4, v[8:9]
	v_lshlrev_b64_e32 v[20:21], 4, v[10:11]
	ds_load_b128 v[8:11], v34 offset:4992
	ds_load_b128 v[12:15], v34 offset:5824
	v_lshlrev_b64_e32 v[22:23], 4, v[22:23]
	v_add_co_u32 v18, vcc_lo, v36, v18
	s_wait_alu 0xfffd
	v_add_co_ci_u32_e32 v19, vcc_lo, v37, v19, vcc_lo
	v_add_co_u32 v20, vcc_lo, v36, v20
	s_wait_alu 0xfffd
	v_add_co_ci_u32_e32 v21, vcc_lo, v37, v21, vcc_lo
	;; [unrolled: 3-line block ×3, first 2 shown]
	s_wait_dscnt 0x3
	global_store_b128 v[16:17], v[0:3], off
	s_wait_dscnt 0x2
	global_store_b128 v[18:19], v[4:7], off
	;; [unrolled: 2-line block ×4, first 2 shown]
	v_lshlrev_b64_e32 v[0:1], 4, v[24:25]
	v_dual_mov_b32 v9, v113 :: v_dual_add_nc_u32 v8, 0x1d4, v112
	v_dual_mov_b32 v11, v113 :: v_dual_add_nc_u32 v10, 0x208, v112
	;; [unrolled: 1-line block ×3, first 2 shown]
	s_delay_alu instid0(VALU_DEP_4)
	v_add_co_u32 v16, vcc_lo, v36, v0
	s_wait_alu 0xfffd
	v_add_co_ci_u32_e32 v17, vcc_lo, v37, v1, vcc_lo
	ds_load_b128 v[0:3], v34 offset:6656
	ds_load_b128 v[4:7], v34 offset:7488
	v_lshlrev_b64_e32 v[18:19], 4, v[8:9]
	v_lshlrev_b64_e32 v[20:21], 4, v[10:11]
	ds_load_b128 v[8:11], v34 offset:8320
	ds_load_b128 v[12:15], v34 offset:9152
	v_lshlrev_b64_e32 v[22:23], 4, v[22:23]
	v_add_nc_u32_e32 v24, 0x270, v112
	v_add_co_u32 v18, vcc_lo, v36, v18
	s_wait_alu 0xfffd
	v_add_co_ci_u32_e32 v19, vcc_lo, v37, v19, vcc_lo
	v_add_co_u32 v20, vcc_lo, v36, v20
	s_wait_alu 0xfffd
	v_add_co_ci_u32_e32 v21, vcc_lo, v37, v21, vcc_lo
	;; [unrolled: 3-line block ×3, first 2 shown]
	s_wait_dscnt 0x3
	global_store_b128 v[16:17], v[0:3], off
	s_wait_dscnt 0x2
	global_store_b128 v[18:19], v[4:7], off
	;; [unrolled: 2-line block ×4, first 2 shown]
	v_mov_b32_e32 v9, v113
	v_lshlrev_b64_e32 v[0:1], 4, v[24:25]
	v_dual_mov_b32 v11, v113 :: v_dual_add_nc_u32 v8, 0x2a4, v112
	v_dual_mov_b32 v23, v113 :: v_dual_add_nc_u32 v10, 0x2d8, v112
	v_add_nc_u32_e32 v22, 0x30c, v112
	s_delay_alu instid0(VALU_DEP_4)
	v_add_co_u32 v16, vcc_lo, v36, v0
	s_wait_alu 0xfffd
	v_add_co_ci_u32_e32 v17, vcc_lo, v37, v1, vcc_lo
	ds_load_b128 v[0:3], v34 offset:9984
	ds_load_b128 v[4:7], v34 offset:10816
	v_lshlrev_b64_e32 v[18:19], 4, v[8:9]
	v_lshlrev_b64_e32 v[20:21], 4, v[10:11]
	ds_load_b128 v[8:11], v34 offset:11648
	ds_load_b128 v[12:15], v34 offset:12480
	v_lshlrev_b64_e32 v[22:23], 4, v[22:23]
	v_add_nc_u32_e32 v24, 0x340, v112
	v_add_co_u32 v18, vcc_lo, v36, v18
	s_wait_alu 0xfffd
	v_add_co_ci_u32_e32 v19, vcc_lo, v37, v19, vcc_lo
	v_add_co_u32 v20, vcc_lo, v36, v20
	s_wait_alu 0xfffd
	v_add_co_ci_u32_e32 v21, vcc_lo, v37, v21, vcc_lo
	;; [unrolled: 3-line block ×3, first 2 shown]
	s_wait_dscnt 0x3
	global_store_b128 v[16:17], v[0:3], off
	s_wait_dscnt 0x2
	global_store_b128 v[18:19], v[4:7], off
	;; [unrolled: 2-line block ×4, first 2 shown]
	v_mov_b32_e32 v11, v113
	v_lshlrev_b64_e32 v[0:1], 4, v[24:25]
	v_dual_mov_b32 v23, v113 :: v_dual_add_nc_u32 v8, 0x374, v112
	v_dual_mov_b32 v9, v113 :: v_dual_add_nc_u32 v10, 0x3a8, v112
	v_add_nc_u32_e32 v22, 0x3dc, v112
	s_delay_alu instid0(VALU_DEP_4)
	v_add_co_u32 v16, vcc_lo, v36, v0
	s_wait_alu 0xfffd
	v_add_co_ci_u32_e32 v17, vcc_lo, v37, v1, vcc_lo
	ds_load_b128 v[0:3], v34 offset:13312
	ds_load_b128 v[4:7], v34 offset:14144
	v_lshlrev_b64_e32 v[18:19], 4, v[8:9]
	v_lshlrev_b64_e32 v[20:21], 4, v[10:11]
	ds_load_b128 v[8:11], v34 offset:14976
	ds_load_b128 v[12:15], v34 offset:15808
	v_lshlrev_b64_e32 v[22:23], 4, v[22:23]
	v_add_nc_u32_e32 v24, 0x410, v112
	v_add_co_u32 v18, vcc_lo, v36, v18
	s_wait_alu 0xfffd
	v_add_co_ci_u32_e32 v19, vcc_lo, v37, v19, vcc_lo
	v_add_co_u32 v20, vcc_lo, v36, v20
	s_wait_alu 0xfffd
	v_add_co_ci_u32_e32 v21, vcc_lo, v37, v21, vcc_lo
	v_add_co_u32 v22, vcc_lo, v36, v22
	s_wait_dscnt 0x3
	global_store_b128 v[16:17], v[0:3], off
	s_wait_dscnt 0x2
	global_store_b128 v[18:19], v[4:7], off
	v_dual_mov_b32 v17, v113 :: v_dual_add_nc_u32 v2, 0x444, v112
	v_mov_b32_e32 v19, v113
	v_mov_b32_e32 v3, v113
	s_wait_alu 0xfffd
	v_add_co_ci_u32_e32 v23, vcc_lo, v37, v23, vcc_lo
	v_lshlrev_b64_e32 v[0:1], 4, v[24:25]
	s_wait_dscnt 0x1
	global_store_b128 v[20:21], v[8:11], off
	s_wait_dscnt 0x0
	global_store_b128 v[22:23], v[12:15], off
	v_lshlrev_b64_e32 v[8:9], 4, v[2:3]
	v_dual_mov_b32 v11, v113 :: v_dual_add_nc_u32 v10, 0x478, v112
	v_add_co_u32 v24, vcc_lo, v36, v0
	s_wait_alu 0xfffd
	v_add_co_ci_u32_e32 v25, vcc_lo, v37, v1, vcc_lo
	s_delay_alu instid0(VALU_DEP_4)
	v_add_co_u32 v26, vcc_lo, v36, v8
	s_wait_alu 0xfffd
	v_add_co_ci_u32_e32 v27, vcc_lo, v37, v9, vcc_lo
	v_lshlrev_b64_e32 v[8:9], 4, v[10:11]
	v_add_nc_u32_e32 v16, 0x4ac, v112
	v_add_nc_u32_e32 v18, 0x4e0, v112
	ds_load_b128 v[0:3], v34 offset:16640
	ds_load_b128 v[4:7], v34 offset:17472
	v_add_nc_u32_e32 v112, 0x514, v112
	v_add_co_u32 v28, vcc_lo, v36, v8
	s_wait_alu 0xfffd
	v_add_co_ci_u32_e32 v29, vcc_lo, v37, v9, vcc_lo
	ds_load_b128 v[8:11], v34 offset:18304
	ds_load_b128 v[12:15], v34 offset:19136
	v_lshlrev_b64_e32 v[30:31], 4, v[16:17]
	v_lshlrev_b64_e32 v[32:33], 4, v[18:19]
	ds_load_b128 v[16:19], v34 offset:19968
	ds_load_b128 v[20:23], v34 offset:20800
	v_lshlrev_b64_e32 v[34:35], 4, v[112:113]
	v_add_co_u32 v30, vcc_lo, v36, v30
	s_wait_alu 0xfffd
	v_add_co_ci_u32_e32 v31, vcc_lo, v37, v31, vcc_lo
	v_add_co_u32 v32, vcc_lo, v36, v32
	s_wait_alu 0xfffd
	v_add_co_ci_u32_e32 v33, vcc_lo, v37, v33, vcc_lo
	;; [unrolled: 3-line block ×3, first 2 shown]
	s_wait_dscnt 0x5
	global_store_b128 v[24:25], v[0:3], off
	s_wait_dscnt 0x4
	global_store_b128 v[26:27], v[4:7], off
	;; [unrolled: 2-line block ×6, first 2 shown]
.LBB0_23:
	s_nop 0
	s_sendmsg sendmsg(MSG_DEALLOC_VGPRS)
	s_endpgm
	.section	.rodata,"a",@progbits
	.p2align	6, 0x0
	.amdhsa_kernel fft_rtc_fwd_len1352_factors_2_13_13_4_wgs_52_tpt_52_halfLds_dp_ip_CI_unitstride_sbrr_C2R_dirReg
		.amdhsa_group_segment_fixed_size 0
		.amdhsa_private_segment_fixed_size 0
		.amdhsa_kernarg_size 88
		.amdhsa_user_sgpr_count 2
		.amdhsa_user_sgpr_dispatch_ptr 0
		.amdhsa_user_sgpr_queue_ptr 0
		.amdhsa_user_sgpr_kernarg_segment_ptr 1
		.amdhsa_user_sgpr_dispatch_id 0
		.amdhsa_user_sgpr_private_segment_size 0
		.amdhsa_wavefront_size32 1
		.amdhsa_uses_dynamic_stack 0
		.amdhsa_enable_private_segment 0
		.amdhsa_system_sgpr_workgroup_id_x 1
		.amdhsa_system_sgpr_workgroup_id_y 0
		.amdhsa_system_sgpr_workgroup_id_z 0
		.amdhsa_system_sgpr_workgroup_info 0
		.amdhsa_system_vgpr_workitem_id 0
		.amdhsa_next_free_vgpr 227
		.amdhsa_next_free_sgpr 44
		.amdhsa_reserve_vcc 1
		.amdhsa_float_round_mode_32 0
		.amdhsa_float_round_mode_16_64 0
		.amdhsa_float_denorm_mode_32 3
		.amdhsa_float_denorm_mode_16_64 3
		.amdhsa_fp16_overflow 0
		.amdhsa_workgroup_processor_mode 1
		.amdhsa_memory_ordered 1
		.amdhsa_forward_progress 0
		.amdhsa_round_robin_scheduling 0
		.amdhsa_exception_fp_ieee_invalid_op 0
		.amdhsa_exception_fp_denorm_src 0
		.amdhsa_exception_fp_ieee_div_zero 0
		.amdhsa_exception_fp_ieee_overflow 0
		.amdhsa_exception_fp_ieee_underflow 0
		.amdhsa_exception_fp_ieee_inexact 0
		.amdhsa_exception_int_div_zero 0
	.end_amdhsa_kernel
	.text
.Lfunc_end0:
	.size	fft_rtc_fwd_len1352_factors_2_13_13_4_wgs_52_tpt_52_halfLds_dp_ip_CI_unitstride_sbrr_C2R_dirReg, .Lfunc_end0-fft_rtc_fwd_len1352_factors_2_13_13_4_wgs_52_tpt_52_halfLds_dp_ip_CI_unitstride_sbrr_C2R_dirReg
                                        ; -- End function
	.section	.AMDGPU.csdata,"",@progbits
; Kernel info:
; codeLenInByte = 22684
; NumSgprs: 46
; NumVgprs: 227
; ScratchSize: 0
; MemoryBound: 0
; FloatMode: 240
; IeeeMode: 1
; LDSByteSize: 0 bytes/workgroup (compile time only)
; SGPRBlocks: 5
; VGPRBlocks: 28
; NumSGPRsForWavesPerEU: 46
; NumVGPRsForWavesPerEU: 227
; Occupancy: 6
; WaveLimiterHint : 1
; COMPUTE_PGM_RSRC2:SCRATCH_EN: 0
; COMPUTE_PGM_RSRC2:USER_SGPR: 2
; COMPUTE_PGM_RSRC2:TRAP_HANDLER: 0
; COMPUTE_PGM_RSRC2:TGID_X_EN: 1
; COMPUTE_PGM_RSRC2:TGID_Y_EN: 0
; COMPUTE_PGM_RSRC2:TGID_Z_EN: 0
; COMPUTE_PGM_RSRC2:TIDIG_COMP_CNT: 0
	.text
	.p2alignl 7, 3214868480
	.fill 96, 4, 3214868480
	.type	__hip_cuid_2742038ce2a889ae,@object ; @__hip_cuid_2742038ce2a889ae
	.section	.bss,"aw",@nobits
	.globl	__hip_cuid_2742038ce2a889ae
__hip_cuid_2742038ce2a889ae:
	.byte	0                               ; 0x0
	.size	__hip_cuid_2742038ce2a889ae, 1

	.ident	"AMD clang version 19.0.0git (https://github.com/RadeonOpenCompute/llvm-project roc-6.4.0 25133 c7fe45cf4b819c5991fe208aaa96edf142730f1d)"
	.section	".note.GNU-stack","",@progbits
	.addrsig
	.addrsig_sym __hip_cuid_2742038ce2a889ae
	.amdgpu_metadata
---
amdhsa.kernels:
  - .args:
      - .actual_access:  read_only
        .address_space:  global
        .offset:         0
        .size:           8
        .value_kind:     global_buffer
      - .offset:         8
        .size:           8
        .value_kind:     by_value
      - .actual_access:  read_only
        .address_space:  global
        .offset:         16
        .size:           8
        .value_kind:     global_buffer
      - .actual_access:  read_only
        .address_space:  global
        .offset:         24
        .size:           8
        .value_kind:     global_buffer
      - .offset:         32
        .size:           8
        .value_kind:     by_value
      - .actual_access:  read_only
        .address_space:  global
        .offset:         40
        .size:           8
        .value_kind:     global_buffer
      - .actual_access:  read_only
        .address_space:  global
        .offset:         48
        .size:           8
        .value_kind:     global_buffer
      - .offset:         56
        .size:           4
        .value_kind:     by_value
      - .actual_access:  read_only
        .address_space:  global
        .offset:         64
        .size:           8
        .value_kind:     global_buffer
      - .actual_access:  read_only
        .address_space:  global
        .offset:         72
        .size:           8
        .value_kind:     global_buffer
      - .address_space:  global
        .offset:         80
        .size:           8
        .value_kind:     global_buffer
    .group_segment_fixed_size: 0
    .kernarg_segment_align: 8
    .kernarg_segment_size: 88
    .language:       OpenCL C
    .language_version:
      - 2
      - 0
    .max_flat_workgroup_size: 52
    .name:           fft_rtc_fwd_len1352_factors_2_13_13_4_wgs_52_tpt_52_halfLds_dp_ip_CI_unitstride_sbrr_C2R_dirReg
    .private_segment_fixed_size: 0
    .sgpr_count:     46
    .sgpr_spill_count: 0
    .symbol:         fft_rtc_fwd_len1352_factors_2_13_13_4_wgs_52_tpt_52_halfLds_dp_ip_CI_unitstride_sbrr_C2R_dirReg.kd
    .uniform_work_group_size: 1
    .uses_dynamic_stack: false
    .vgpr_count:     227
    .vgpr_spill_count: 0
    .wavefront_size: 32
    .workgroup_processor_mode: 1
amdhsa.target:   amdgcn-amd-amdhsa--gfx1201
amdhsa.version:
  - 1
  - 2
...

	.end_amdgpu_metadata
